;; amdgpu-corpus repo=zjin-lcf/HeCBench kind=compiled arch=gfx1250 opt=O3
	.amdgcn_target "amdgcn-amd-amdhsa--gfx1250"
	.amdhsa_code_object_version 6
	.text
	.protected	_Z5RHS_fdPKdPd          ; -- Begin function _Z5RHS_fdPKdPd
	.globl	_Z5RHS_fdPKdPd
	.p2align	8
	.type	_Z5RHS_fdPKdPd,@function
_Z5RHS_fdPKdPd:                         ; @_Z5RHS_fdPKdPd
; %bb.0:
	s_clause 0x1
	s_load_b128 s[4:7], s[0:1], 0x0
	s_load_b64 s[8:9], s[0:1], 0x10
	s_wait_xcnt 0x0
	s_mov_b32 s0, exec_lo
	s_wait_kmcnt 0x0
	s_load_b64 s[10:11], s[6:7], 0x0
	v_cmpx_ne_u32_e32 0, v0
	s_xor_b32 s22, exec_lo, s0
	s_cbranch_execnz .LBB0_3
; %bb.1:
	s_and_not1_saveexec_b32 s0, s22
	s_cbranch_execnz .LBB0_28
.LBB0_2:
	s_endpgm
.LBB0_3:
	s_mov_b32 s23, exec_lo
	v_cmpx_gt_u32_e32 64, v0
	s_cbranch_execz .LBB0_27
; %bb.4:
	v_mad_u32_u24 v1, v0, 14, 7
                                        ; implicit-def: $vgpr26
	s_mov_b32 s0, exec_lo
	s_delay_alu instid0(VALU_DEP_1) | instskip(NEXT) | instid1(VALU_DEP_1)
	v_mad_u32_u24 v1, v1, v0, -2
	v_cvt_f64_u32_e32 v[2:3], v1
	s_delay_alu instid0(VALU_DEP_1) | instskip(NEXT) | instid1(VALU_DEP_1)
	v_dual_add_f64 v[2:3], v[2:3], v[2:3] :: v_dual_lshlrev_b32 v14, 2, v0
	v_add_nc_u32_e32 v1, -1, v14
	s_delay_alu instid0(VALU_DEP_1) | instskip(NEXT) | instid1(VALU_DEP_1)
	v_cvt_f64_u32_e32 v[8:9], v1
	v_div_scale_f64 v[4:5], null, v[8:9], v[8:9], v[2:3]
	v_div_scale_f64 v[12:13], vcc_lo, v[2:3], v[8:9], v[2:3]
	s_delay_alu instid0(VALU_DEP_2) | instskip(SKIP_1) | instid1(TRANS32_DEP_1)
	v_rcp_f64_e32 v[6:7], v[4:5]
	v_nop
	v_fma_f64 v[10:11], -v[4:5], v[6:7], 1.0
	s_delay_alu instid0(VALU_DEP_1) | instskip(NEXT) | instid1(VALU_DEP_1)
	v_fmac_f64_e32 v[6:7], v[6:7], v[10:11]
	v_fma_f64 v[10:11], -v[4:5], v[6:7], 1.0
	s_delay_alu instid0(VALU_DEP_1) | instskip(NEXT) | instid1(VALU_DEP_1)
	v_fmac_f64_e32 v[6:7], v[6:7], v[10:11]
	v_mul_f64_e32 v[10:11], v[12:13], v[6:7]
	s_delay_alu instid0(VALU_DEP_1) | instskip(NEXT) | instid1(VALU_DEP_1)
	v_fma_f64 v[4:5], -v[4:5], v[10:11], v[12:13]
	v_div_fmas_f64 v[4:5], v[4:5], v[6:7], v[10:11]
	v_or_b32_e32 v6, 3, v14
	s_delay_alu instid0(VALU_DEP_1) | instskip(NEXT) | instid1(VALU_DEP_3)
	v_cvt_f64_u32_e32 v[12:13], v6
	v_div_fixup_f64 v[2:3], v[4:5], v[8:9], v[2:3]
	s_delay_alu instid0(VALU_DEP_1) | instskip(SKIP_1) | instid1(VALU_DEP_2)
	v_div_scale_f64 v[4:5], null, v[12:13], v[12:13], v[2:3]
	v_div_scale_f64 v[16:17], vcc_lo, v[2:3], v[12:13], v[2:3]
	v_rcp_f64_e32 v[6:7], v[4:5]
	v_nop
	s_delay_alu instid0(TRANS32_DEP_1) | instskip(NEXT) | instid1(VALU_DEP_1)
	v_fma_f64 v[10:11], -v[4:5], v[6:7], 1.0
	v_fmac_f64_e32 v[6:7], v[6:7], v[10:11]
	s_delay_alu instid0(VALU_DEP_1) | instskip(NEXT) | instid1(VALU_DEP_1)
	v_fma_f64 v[10:11], -v[4:5], v[6:7], 1.0
	v_fmac_f64_e32 v[6:7], v[6:7], v[10:11]
	s_delay_alu instid0(VALU_DEP_1) | instskip(NEXT) | instid1(VALU_DEP_1)
	v_mul_f64_e32 v[10:11], v[16:17], v[6:7]
	v_fma_f64 v[4:5], -v[4:5], v[10:11], v[16:17]
	s_delay_alu instid0(VALU_DEP_1) | instskip(NEXT) | instid1(VALU_DEP_1)
	v_div_fmas_f64 v[4:5], v[4:5], v[6:7], v[10:11]
                                        ; implicit-def: $vgpr6_vgpr7
	v_div_fixup_f64 v[2:3], v[4:5], v[12:13], v[2:3]
	v_mov_b64_e32 v[4:5], 1
	s_delay_alu instid0(VALU_DEP_2)
	v_add_f64_e32 v[10:11], 0xbff5555555555555, v[2:3]
	v_cvt_f64_u32_e32 v[2:3], v0
	v_cmpx_ne_u32_e32 1, v0
	s_xor_b32 s1, exec_lo, s0
	s_cbranch_execz .LBB0_6
; %bb.5:
	v_lshlrev_b32_e32 v26, 1, v0
	s_load_b64 s[2:3], s[6:7], 0x8
	s_delay_alu instid0(VALU_DEP_1) | instskip(NEXT) | instid1(VALU_DEP_1)
	v_dual_sub_nc_u32 v15, v1, v26 :: v_dual_bitop2_b32 v6, 1, v26 bitop3:0x54
	v_cvt_f64_u32_e32 v[4:5], v15
	s_delay_alu instid0(VALU_DEP_2) | instskip(SKIP_3) | instid1(VALU_DEP_3)
	v_cvt_f64_u32_e32 v[6:7], v6
	v_lshlrev_b32_e32 v15, 1, v15
	s_wait_kmcnt 0x0
	v_fmamk_f64 v[10:11], s[2:3], 0xbfc1111111111111, v[10:11]
	v_mul_f64_e32 v[4:5], v[4:5], v[6:7]
	v_add_nc_u32_e32 v16, 2, v26
	s_delay_alu instid0(VALU_DEP_1) | instskip(NEXT) | instid1(VALU_DEP_1)
	v_cvt_f64_u32_e32 v[16:17], v16
	v_mul_f64_e32 v[4:5], v[4:5], v[16:17]
	s_delay_alu instid0(VALU_DEP_1) | instskip(SKIP_1) | instid1(VALU_DEP_2)
	v_div_scale_f64 v[6:7], null, v[12:13], v[12:13], v[4:5]
	v_div_scale_f64 v[22:23], vcc_lo, v[4:5], v[12:13], v[4:5]
	v_rcp_f64_e32 v[18:19], v[6:7]
	v_nop
	s_delay_alu instid0(TRANS32_DEP_1) | instskip(NEXT) | instid1(VALU_DEP_1)
	v_fma_f64 v[20:21], -v[6:7], v[18:19], 1.0
	v_fmac_f64_e32 v[18:19], v[18:19], v[20:21]
	s_delay_alu instid0(VALU_DEP_1) | instskip(NEXT) | instid1(VALU_DEP_1)
	v_fma_f64 v[20:21], -v[6:7], v[18:19], 1.0
	v_fmac_f64_e32 v[18:19], v[18:19], v[20:21]
	s_delay_alu instid0(VALU_DEP_1) | instskip(NEXT) | instid1(VALU_DEP_1)
	v_mul_f64_e32 v[20:21], v[22:23], v[18:19]
	v_fma_f64 v[6:7], -v[6:7], v[20:21], v[22:23]
	v_cvt_f64_u32_e32 v[22:23], v15
	v_add_nc_u32_e32 v15, 5, v14
	s_delay_alu instid0(VALU_DEP_3) | instskip(NEXT) | instid1(VALU_DEP_3)
	v_div_fmas_f64 v[6:7], v[6:7], v[18:19], v[20:21]
	v_mul_f64_e32 v[18:19], v[2:3], v[22:23]
	v_add_nc_u32_e32 v22, -3, v14
	s_delay_alu instid0(VALU_DEP_4) | instskip(NEXT) | instid1(VALU_DEP_4)
	v_cvt_f64_u32_e32 v[20:21], v15
	v_div_fixup_f64 v[4:5], v[6:7], v[12:13], v[4:5]
	s_delay_alu instid0(VALU_DEP_3) | instskip(SKIP_1) | instid1(VALU_DEP_3)
	v_cvt_f64_u32_e32 v[6:7], v22
	v_mul_f64_e32 v[12:13], v[18:19], v[16:17]
	v_div_scale_f64 v[16:17], null, v[20:21], v[20:21], v[4:5]
	s_delay_alu instid0(VALU_DEP_2) | instskip(SKIP_1) | instid1(VALU_DEP_3)
	v_div_scale_f64 v[18:19], null, v[6:7], v[6:7], v[12:13]
	v_div_scale_f64 v[32:33], vcc_lo, v[4:5], v[20:21], v[4:5]
	v_rcp_f64_e32 v[22:23], v[16:17]
	s_delay_alu instid0(VALU_DEP_2) | instskip(NEXT) | instid1(TRANS32_DEP_2)
	v_rcp_f64_e32 v[24:25], v[18:19]
	v_fma_f64 v[28:29], -v[16:17], v[22:23], 1.0
	s_delay_alu instid0(TRANS32_DEP_1) | instskip(NEXT) | instid1(VALU_DEP_2)
	v_fma_f64 v[30:31], -v[18:19], v[24:25], 1.0
	v_fmac_f64_e32 v[22:23], v[22:23], v[28:29]
	s_delay_alu instid0(VALU_DEP_2) | instskip(NEXT) | instid1(VALU_DEP_2)
	v_fmac_f64_e32 v[24:25], v[24:25], v[30:31]
	v_fma_f64 v[28:29], -v[16:17], v[22:23], 1.0
	s_delay_alu instid0(VALU_DEP_2) | instskip(NEXT) | instid1(VALU_DEP_2)
	v_fma_f64 v[30:31], -v[18:19], v[24:25], 1.0
	v_fmac_f64_e32 v[22:23], v[22:23], v[28:29]
	v_div_scale_f64 v[28:29], s0, v[12:13], v[6:7], v[12:13]
	s_delay_alu instid0(VALU_DEP_3) | instskip(NEXT) | instid1(VALU_DEP_3)
	v_fmac_f64_e32 v[24:25], v[24:25], v[30:31]
	v_mul_f64_e32 v[30:31], v[32:33], v[22:23]
	s_delay_alu instid0(VALU_DEP_2) | instskip(NEXT) | instid1(VALU_DEP_2)
	v_mul_f64_e32 v[34:35], v[28:29], v[24:25]
	v_fma_f64 v[16:17], -v[16:17], v[30:31], v[32:33]
	s_delay_alu instid0(VALU_DEP_2) | instskip(NEXT) | instid1(VALU_DEP_2)
	v_fma_f64 v[18:19], -v[18:19], v[34:35], v[28:29]
	v_div_fmas_f64 v[16:17], v[16:17], v[22:23], v[30:31]
	s_mov_b32 vcc_lo, s0
	global_load_b64 v[22:23], v0, s[6:7] offset:-8 scale_offset
	v_div_fmas_f64 v[18:19], v[18:19], v[24:25], v[34:35]
	v_div_fixup_f64 v[4:5], v[16:17], v[20:21], v[4:5]
	s_delay_alu instid0(VALU_DEP_2) | instskip(SKIP_2) | instid1(VALU_DEP_1)
	v_div_fixup_f64 v[12:13], v[18:19], v[6:7], v[12:13]
	global_load_b64 v[6:7], v0, s[6:7] offset:8 scale_offset
	v_div_scale_f64 v[18:19], null, v[8:9], v[8:9], v[12:13]
	v_rcp_f64_e32 v[24:25], v[18:19]
	v_nop
	s_delay_alu instid0(TRANS32_DEP_1) | instskip(NEXT) | instid1(VALU_DEP_1)
	v_fma_f64 v[28:29], -v[18:19], v[24:25], 1.0
	v_fmac_f64_e32 v[24:25], v[24:25], v[28:29]
	s_delay_alu instid0(VALU_DEP_1) | instskip(NEXT) | instid1(VALU_DEP_1)
	v_fma_f64 v[28:29], -v[18:19], v[24:25], 1.0
	v_fmac_f64_e32 v[24:25], v[24:25], v[28:29]
	v_div_scale_f64 v[28:29], vcc_lo, v[12:13], v[8:9], v[12:13]
	s_delay_alu instid0(VALU_DEP_1) | instskip(NEXT) | instid1(VALU_DEP_1)
	v_mul_f64_e32 v[30:31], v[28:29], v[24:25]
	v_fma_f64 v[18:19], -v[18:19], v[30:31], v[28:29]
	s_delay_alu instid0(VALU_DEP_1) | instskip(SKIP_2) | instid1(VALU_DEP_2)
	v_div_fmas_f64 v[16:17], v[18:19], v[24:25], v[30:31]
	s_wait_loadcnt 0x0
	v_fma_f64 v[6:7], -v[4:5], v[6:7], v[10:11]
                                        ; implicit-def: $vgpr10_vgpr11
	v_div_fixup_f64 v[4:5], v[16:17], v[8:9], v[12:13]
	s_delay_alu instid0(VALU_DEP_1)
	v_fmac_f64_e32 v[6:7], v[4:5], v[22:23]
	v_mov_b64_e32 v[4:5], v[0:1]
.LBB0_6:
	s_and_not1_saveexec_b32 s0, s1
	s_cbranch_execz .LBB0_8
; %bb.7:
	s_load_b128 s[12:15], s[6:7], 0x8
	v_mov_b32_e32 v26, 2
	s_wait_kmcnt 0x0
	s_delay_alu instid0(VALU_DEP_4) | instskip(NEXT) | instid1(VALU_DEP_1)
	v_fmamk_f64 v[6:7], s[12:13], 0xbfc1111111111111, v[10:11]
	v_fmamk_f64 v[6:7], s[14:15], 0xbfc8618618618618, v[6:7]
	s_delay_alu instid0(VALU_DEP_1)
	v_add_f64_e32 v[6:7], 0x4005555555555555, v[6:7]
.LBB0_8:
	s_or_b32 exec_lo, exec_lo, s0
	s_delay_alu instid0(VALU_DEP_1)
	v_dual_lshlrev_b32 v8, 4, v4 :: v_dual_bitop2_b32 v5, 1, v14 bitop3:0x54
	v_mov_b32_e32 v9, 0
	s_get_pc_i64 s[0:1]
	s_add_nc_u64 s[0:1], s[0:1], _ZL17double_fact_table@rel64+28
	s_get_pc_i64 s[2:3]
	s_add_nc_u64 s[2:3], s[2:3], _ZL10fact_table@rel64+20
	v_cvt_f64_u32_e32 v[10:11], v5
	v_dual_add_nc_u32 v5, -4, v26 :: v_dual_sub_nc_u32 v27, 4, v26
	v_add_nc_u64_e32 v[12:13], s[0:1], v[8:9]
	v_lshlrev_b32_e32 v8, 3, v4
	v_dual_mov_b32 v29, v26 :: v_dual_sub_nc_u32 v28, 2, v0
	v_mov_b32_e32 v30, v26
	s_mov_b32 s0, 1
	s_delay_alu instid0(VALU_DEP_3)
	v_add_nc_u64_e32 v[14:15], s[2:3], v[8:9]
	v_mov_b64_e32 v[8:9], 0
	s_add_nc_u64 s[12:13], s[6:7], 8
	s_mov_b32 s1, 0
	s_mov_b32 s20, 0
	;; [unrolled: 1-line block ×3, first 2 shown]
	s_get_pc_i64 s[2:3]
	s_add_nc_u64 s[2:3], s[2:3], _ZL10fact_table@rel64+4
	s_get_pc_i64 s[14:15]
	s_add_nc_u64 s[14:15], s[14:15], _ZL17double_fact_table@rel64-4
	s_branch .LBB0_10
.LBB0_9:                                ;   in Loop: Header=BB0_10 Depth=1
	v_add_nc_u64_e32 v[12:13], 16, v[12:13]
	v_add_nc_u64_e32 v[14:15], 8, v[14:15]
	v_dual_add_nc_u32 v30, -2, v30 :: v_dual_add_nc_u32 v29, 2, v29
	v_dual_add_nc_u32 v5, -2, v5 :: v_dual_add_nc_u32 v27, 2, v27
	v_add_nc_u32_e32 v28, 1, v28
	s_add_co_i32 s0, s0, 1
	s_add_co_i32 s21, s21, -1
	s_add_co_i32 s20, s20, 1
	s_cmp_lg_u32 s0, 64
	s_cbranch_scc0 .LBB0_24
.LBB0_10:                               ; =>This Loop Header: Depth=1
                                        ;     Child Loop BB0_13 Depth 2
	v_mov_b64_e32 v[16:17], v[14:15]
	v_mov_b64_e32 v[18:19], v[12:13]
	v_mov_b32_e32 v31, v28
	s_lshl_b64 s[16:17], s[0:1], 3
	s_mov_b32 s24, s20
	s_add_nc_u64 s[16:17], s[6:7], s[16:17]
	s_mov_b32 s25, 0
	s_mov_b32 s26, s21
	s_mov_b64 s[18:19], s[12:13]
	s_mov_b32 s27, 0
	s_branch .LBB0_13
.LBB0_11:                               ;   in Loop: Header=BB0_13 Depth=2
	s_or_b32 exec_lo, exec_lo, s29
	global_load_b64 v[32:33], v[18:19], off
	global_load_b64 v[34:35], v[16:17], off
	v_mul_f64_e32 v[20:21], v[22:23], v[20:21]
	s_load_b64 s[30:31], s[16:17], 0x0
	s_delay_alu instid0(VALU_DEP_1) | instskip(SKIP_3) | instid1(VALU_DEP_2)
	v_mul_f64_e32 v[20:21], v[20:21], v[24:25]
	s_wait_loadcnt 0x0
	v_div_scale_f64 v[36:37], null, v[34:35], v[34:35], v[32:33]
	v_div_scale_f64 v[42:43], vcc_lo, v[32:33], v[34:35], v[32:33]
	v_rcp_f64_e32 v[38:39], v[36:37]
	v_nop
	s_delay_alu instid0(TRANS32_DEP_1) | instskip(NEXT) | instid1(VALU_DEP_1)
	v_fma_f64 v[40:41], -v[36:37], v[38:39], 1.0
	v_fmac_f64_e32 v[38:39], v[38:39], v[40:41]
	s_delay_alu instid0(VALU_DEP_1) | instskip(NEXT) | instid1(VALU_DEP_1)
	v_fma_f64 v[40:41], -v[36:37], v[38:39], 1.0
	v_fmac_f64_e32 v[38:39], v[38:39], v[40:41]
	s_delay_alu instid0(VALU_DEP_1) | instskip(NEXT) | instid1(VALU_DEP_1)
	v_mul_f64_e32 v[40:41], v[42:43], v[38:39]
	v_fma_f64 v[36:37], -v[36:37], v[40:41], v[42:43]
	s_delay_alu instid0(VALU_DEP_1) | instskip(NEXT) | instid1(VALU_DEP_1)
	v_div_fmas_f64 v[22:23], v[36:37], v[38:39], v[40:41]
	v_div_fixup_f64 v[22:23], v[22:23], v[34:35], v[32:33]
	s_delay_alu instid0(VALU_DEP_1) | instskip(SKIP_1) | instid1(VALU_DEP_2)
	v_div_scale_f64 v[24:25], null, v[22:23], v[22:23], v[20:21]
	v_div_scale_f64 v[36:37], vcc_lo, v[20:21], v[22:23], v[20:21]
	v_rcp_f64_e32 v[32:33], v[24:25]
	v_nop
	s_delay_alu instid0(TRANS32_DEP_1) | instskip(NEXT) | instid1(VALU_DEP_1)
	v_fma_f64 v[34:35], -v[24:25], v[32:33], 1.0
	v_fmac_f64_e32 v[32:33], v[32:33], v[34:35]
	s_delay_alu instid0(VALU_DEP_1) | instskip(NEXT) | instid1(VALU_DEP_1)
	v_fma_f64 v[34:35], -v[24:25], v[32:33], 1.0
	v_fmac_f64_e32 v[32:33], v[32:33], v[34:35]
	s_delay_alu instid0(VALU_DEP_1) | instskip(NEXT) | instid1(VALU_DEP_1)
	v_mul_f64_e32 v[34:35], v[36:37], v[32:33]
	v_fma_f64 v[24:25], -v[24:25], v[34:35], v[36:37]
	s_delay_alu instid0(VALU_DEP_1) | instskip(NEXT) | instid1(VALU_DEP_1)
	v_div_fmas_f64 v[24:25], v[24:25], v[32:33], v[34:35]
	v_div_fixup_f64 v[20:21], v[24:25], v[22:23], v[20:21]
	v_add3_u32 v22, v29, s27, 5
	s_delay_alu instid0(VALU_DEP_1) | instskip(NEXT) | instid1(VALU_DEP_3)
	v_cvt_f64_u32_e32 v[22:23], v22
	v_mul_f64_e32 v[20:21], v[20:21], v[10:11]
	s_delay_alu instid0(VALU_DEP_1) | instskip(NEXT) | instid1(VALU_DEP_1)
	v_div_scale_f64 v[24:25], null, v[22:23], v[22:23], v[20:21]
	v_rcp_f64_e32 v[32:33], v[24:25]
	v_nop
	s_delay_alu instid0(TRANS32_DEP_1) | instskip(NEXT) | instid1(VALU_DEP_1)
	v_fma_f64 v[34:35], -v[24:25], v[32:33], 1.0
	v_fmac_f64_e32 v[32:33], v[32:33], v[34:35]
	s_delay_alu instid0(VALU_DEP_1) | instskip(NEXT) | instid1(VALU_DEP_1)
	v_fma_f64 v[34:35], -v[24:25], v[32:33], 1.0
	v_fmac_f64_e32 v[32:33], v[32:33], v[34:35]
	v_div_scale_f64 v[34:35], vcc_lo, v[20:21], v[22:23], v[20:21]
	s_delay_alu instid0(VALU_DEP_1) | instskip(NEXT) | instid1(VALU_DEP_1)
	v_mul_f64_e32 v[36:37], v[34:35], v[32:33]
	v_fma_f64 v[24:25], -v[24:25], v[36:37], v[34:35]
	s_delay_alu instid0(VALU_DEP_1) | instskip(NEXT) | instid1(VALU_DEP_1)
	v_div_fmas_f64 v[24:25], v[24:25], v[32:33], v[36:37]
	v_div_fixup_f64 v[20:21], v[24:25], v[22:23], v[20:21]
	s_wait_kmcnt 0x0
	s_delay_alu instid0(VALU_DEP_1) | instskip(SKIP_2) | instid1(VALU_DEP_1)
	v_mul_f64_e32 v[20:21], s[30:31], v[20:21]
	s_load_b64 s[30:31], s[18:19], 0x0
	s_wait_kmcnt 0x0
	v_fmac_f64_e32 v[8:9], s[30:31], v[20:21]
.LBB0_12:                               ;   in Loop: Header=BB0_13 Depth=2
	s_or_b32 exec_lo, exec_lo, s28
	v_add_nc_u64_e32 v[18:19], 16, v[18:19]
	v_add_nc_u64_e32 v[16:17], 8, v[16:17]
	v_add_nc_u32_e32 v31, 1, v31
	s_add_co_i32 s27, s27, 2
	s_add_co_i32 s26, s26, 1
	s_add_co_i32 s25, s25, -2
	s_add_co_i32 s24, s24, -1
	s_cmp_eq_u32 s27, 0x7e
	s_add_nc_u64 s[18:19], s[18:19], 8
	s_cbranch_scc1 .LBB0_9
.LBB0_13:                               ;   Parent Loop BB0_10 Depth=1
                                        ; =>  This Inner Loop Header: Depth=2
	s_abs_i32 s28, s24
	s_delay_alu instid0(SALU_CYCLE_1)
	v_cmp_le_u32_e32 vcc_lo, s28, v0
	s_and_saveexec_b32 s28, vcc_lo
	s_cbranch_execz .LBB0_12
; %bb.14:                               ;   in Loop: Header=BB0_13 Depth=2
	v_mov_b64_e32 v[20:21], 0
	v_mov_b64_e32 v[22:23], 0
	v_add_nc_u32_e32 v24, s24, v0
	s_mov_b32 s29, exec_lo
	s_delay_alu instid0(VALU_DEP_1)
	v_cmpx_lt_i32_e32 -1, v24
	s_cbranch_execz .LBB0_18
; %bb.15:                               ;   in Loop: Header=BB0_13 Depth=2
	v_mov_b64_e32 v[22:23], 1.0
	s_mov_b32 s30, exec_lo
	v_cmpx_ne_u32_e64 s27, v29
	s_cbranch_execz .LBB0_17
; %bb.16:                               ;   in Loop: Header=BB0_13 Depth=2
	v_add_nc_u32_e32 v25, s25, v29
	global_load_b64 v[22:23], v24, s[2:3] scale_offset
	global_load_b64 v[32:33], v25, s[14:15] scale_offset
	s_wait_loadcnt 0x0
	v_div_scale_f64 v[24:25], null, v[22:23], v[22:23], v[32:33]
	s_delay_alu instid0(VALU_DEP_1) | instskip(SKIP_1) | instid1(TRANS32_DEP_1)
	v_rcp_f64_e32 v[34:35], v[24:25]
	v_nop
	v_fma_f64 v[36:37], -v[24:25], v[34:35], 1.0
	s_delay_alu instid0(VALU_DEP_1) | instskip(NEXT) | instid1(VALU_DEP_1)
	v_fmac_f64_e32 v[34:35], v[34:35], v[36:37]
	v_fma_f64 v[36:37], -v[24:25], v[34:35], 1.0
	s_delay_alu instid0(VALU_DEP_1) | instskip(SKIP_1) | instid1(VALU_DEP_1)
	v_fmac_f64_e32 v[34:35], v[34:35], v[36:37]
	v_div_scale_f64 v[36:37], vcc_lo, v[32:33], v[22:23], v[32:33]
	v_mul_f64_e32 v[38:39], v[36:37], v[34:35]
	s_delay_alu instid0(VALU_DEP_1) | instskip(NEXT) | instid1(VALU_DEP_1)
	v_fma_f64 v[24:25], -v[24:25], v[38:39], v[36:37]
	v_div_fmas_f64 v[24:25], v[24:25], v[34:35], v[38:39]
	s_delay_alu instid0(VALU_DEP_1)
	v_div_fixup_f64 v[22:23], v[24:25], v[22:23], v[32:33]
.LBB0_17:                               ;   in Loop: Header=BB0_13 Depth=2
	s_or_b32 exec_lo, exec_lo, s30
.LBB0_18:                               ;   in Loop: Header=BB0_13 Depth=2
	s_delay_alu instid0(SALU_CYCLE_1) | instskip(NEXT) | instid1(SALU_CYCLE_1)
	s_or_b32 exec_lo, exec_lo, s29
	s_mov_b32 s29, exec_lo
	v_cmpx_lt_i32_e32 -1, v31
	s_cbranch_execz .LBB0_22
; %bb.19:                               ;   in Loop: Header=BB0_13 Depth=2
	v_mov_b64_e32 v[20:21], 1.0
	s_mov_b32 s30, exec_lo
	v_cmpx_ne_u32_e64 s27, v5
	s_cbranch_execz .LBB0_21
; %bb.20:                               ;   in Loop: Header=BB0_13 Depth=2
	v_add_nc_u32_e32 v32, s27, v27
	global_load_b64 v[20:21], v31, s[2:3] scale_offset
	global_load_b64 v[24:25], v32, s[14:15] scale_offset
	s_wait_loadcnt 0x0
	v_div_scale_f64 v[32:33], null, v[20:21], v[20:21], v[24:25]
	s_delay_alu instid0(VALU_DEP_1) | instskip(SKIP_1) | instid1(TRANS32_DEP_1)
	v_rcp_f64_e32 v[34:35], v[32:33]
	v_nop
	v_fma_f64 v[36:37], -v[32:33], v[34:35], 1.0
	s_delay_alu instid0(VALU_DEP_1) | instskip(NEXT) | instid1(VALU_DEP_1)
	v_fmac_f64_e32 v[34:35], v[34:35], v[36:37]
	v_fma_f64 v[36:37], -v[32:33], v[34:35], 1.0
	s_delay_alu instid0(VALU_DEP_1) | instskip(SKIP_1) | instid1(VALU_DEP_1)
	v_fmac_f64_e32 v[34:35], v[34:35], v[36:37]
	v_div_scale_f64 v[36:37], vcc_lo, v[24:25], v[20:21], v[24:25]
	v_mul_f64_e32 v[38:39], v[36:37], v[34:35]
	s_delay_alu instid0(VALU_DEP_1) | instskip(NEXT) | instid1(VALU_DEP_1)
	v_fma_f64 v[32:33], -v[32:33], v[38:39], v[36:37]
	v_div_fmas_f64 v[32:33], v[32:33], v[34:35], v[38:39]
	s_delay_alu instid0(VALU_DEP_1)
	v_div_fixup_f64 v[20:21], v[32:33], v[20:21], v[24:25]
.LBB0_21:                               ;   in Loop: Header=BB0_13 Depth=2
	s_or_b32 exec_lo, exec_lo, s30
.LBB0_22:                               ;   in Loop: Header=BB0_13 Depth=2
	s_delay_alu instid0(SALU_CYCLE_1) | instskip(SKIP_3) | instid1(VALU_DEP_1)
	s_or_b32 exec_lo, exec_lo, s29
	v_mov_b64_e32 v[24:25], 1.0
	v_add_nc_u32_e32 v32, s27, v30
	s_mov_b32 s29, exec_lo
	v_cmpx_ne_u32_e32 0, v32
	s_cbranch_execz .LBB0_11
; %bb.23:                               ;   in Loop: Header=BB0_13 Depth=2
	v_add_nc_u32_e32 v33, s26, v0
	global_load_b64 v[24:25], v32, s[14:15] scale_offset
	global_load_b64 v[34:35], v33, s[2:3] scale_offset
	s_wait_loadcnt 0x0
	v_div_scale_f64 v[32:33], null, v[34:35], v[34:35], v[24:25]
	s_delay_alu instid0(VALU_DEP_1) | instskip(SKIP_1) | instid1(TRANS32_DEP_1)
	v_rcp_f64_e32 v[36:37], v[32:33]
	v_nop
	v_fma_f64 v[38:39], -v[32:33], v[36:37], 1.0
	s_delay_alu instid0(VALU_DEP_1) | instskip(NEXT) | instid1(VALU_DEP_1)
	v_fmac_f64_e32 v[36:37], v[36:37], v[38:39]
	v_fma_f64 v[38:39], -v[32:33], v[36:37], 1.0
	s_delay_alu instid0(VALU_DEP_1) | instskip(SKIP_1) | instid1(VALU_DEP_1)
	v_fmac_f64_e32 v[36:37], v[36:37], v[38:39]
	v_div_scale_f64 v[38:39], vcc_lo, v[24:25], v[34:35], v[24:25]
	v_mul_f64_e32 v[40:41], v[38:39], v[36:37]
	s_delay_alu instid0(VALU_DEP_1) | instskip(NEXT) | instid1(VALU_DEP_1)
	v_fma_f64 v[32:33], -v[32:33], v[40:41], v[38:39]
	v_div_fmas_f64 v[32:33], v[32:33], v[36:37], v[40:41]
	s_delay_alu instid0(VALU_DEP_1)
	v_div_fixup_f64 v[24:25], v[32:33], v[34:35], v[24:25]
	s_branch .LBB0_11
.LBB0_24:
	v_mov_b64_e32 v[10:11], 0
	v_mov_b64_e32 v[12:13], 0x3fba6564968915a9
	;; [unrolled: 1-line block ×3, first 2 shown]
	s_mov_b64 s[14:15], 0x3fe5555555555555
	s_mov_b64 s[16:17], 0x3fe62e42fefa39ef
	s_mov_b32 s3, 5
	s_mov_b32 s18, 0
                                        ; implicit-def: $vgpr16_vgpr17
                                        ; implicit-def: $vgpr16_vgpr17
	;; [unrolled: 1-line block ×15, first 2 shown]
.LBB0_25:                               ; =>This Inner Loop Header: Depth=1
	s_load_b64 s[20:21], s[12:13], 0x0
	s_wait_xcnt 0x0
	s_add_nc_u64 s[12:13], s[12:13], 8
	s_wait_kmcnt 0x0
	v_frexp_mant_f64_e64 v[16:17], |s[20:21]|
	v_cmp_eq_f64_e64 s0, s[20:21], 1.0
	s_delay_alu instid0(VALU_DEP_2) | instskip(SKIP_3) | instid1(VALU_DEP_1)
	v_cmp_gt_f64_e32 vcc_lo, s[14:15], v[16:17]
	s_and_b32 s0, s0, exec_lo
	s_cselect_b32 s19, 0x3ff00000, 2.0
	v_cndmask_b32_e64 v5, 0, 1, vcc_lo
	v_ldexp_f64 v[16:17], v[16:17], v5
	v_frexp_exp_i32_f64_e32 v5, s[20:21]
	s_delay_alu instid0(VALU_DEP_2) | instskip(SKIP_1) | instid1(VALU_DEP_3)
	v_add_f64_e32 v[18:19], 1.0, v[16:17]
	v_add_f64_e32 v[24:25], -1.0, v[16:17]
	v_subrev_co_ci_u32_e64 v5, null, 0, v5, vcc_lo
	s_delay_alu instid0(VALU_DEP_3) | instskip(SKIP_1) | instid1(VALU_DEP_1)
	v_rcp_f64_e32 v[20:21], v[18:19]
	v_add_f64_e32 v[28:29], -1.0, v[18:19]
	v_add_f64_e64 v[16:17], v[16:17], -v[28:29]
	s_delay_alu instid0(TRANS32_DEP_1) | instskip(NEXT) | instid1(VALU_DEP_1)
	v_fma_f64 v[22:23], -v[18:19], v[20:21], 1.0
	v_fmac_f64_e32 v[20:21], v[22:23], v[20:21]
	s_delay_alu instid0(VALU_DEP_1) | instskip(NEXT) | instid1(VALU_DEP_1)
	v_fma_f64 v[22:23], -v[18:19], v[20:21], 1.0
	v_fmac_f64_e32 v[20:21], v[22:23], v[20:21]
	s_delay_alu instid0(VALU_DEP_1) | instskip(NEXT) | instid1(VALU_DEP_1)
	v_mul_f64_e32 v[22:23], v[24:25], v[20:21]
	v_mul_f64_e32 v[30:31], v[18:19], v[22:23]
	s_delay_alu instid0(VALU_DEP_1) | instskip(NEXT) | instid1(VALU_DEP_1)
	v_fma_f64 v[18:19], v[22:23], v[18:19], -v[30:31]
	v_fmac_f64_e32 v[18:19], v[22:23], v[16:17]
	s_delay_alu instid0(VALU_DEP_1) | instskip(NEXT) | instid1(VALU_DEP_1)
	v_add_f64_e32 v[16:17], v[30:31], v[18:19]
	v_add_f64_e64 v[28:29], v[24:25], -v[16:17]
	v_add_f64_e64 v[30:31], v[16:17], -v[30:31]
	s_delay_alu instid0(VALU_DEP_2) | instskip(NEXT) | instid1(VALU_DEP_2)
	v_add_f64_e64 v[24:25], v[24:25], -v[28:29]
	v_add_f64_e64 v[18:19], v[30:31], -v[18:19]
	s_delay_alu instid0(VALU_DEP_2) | instskip(NEXT) | instid1(VALU_DEP_1)
	v_add_f64_e64 v[16:17], v[24:25], -v[16:17]
	v_add_f64_e32 v[16:17], v[18:19], v[16:17]
	s_delay_alu instid0(VALU_DEP_1) | instskip(NEXT) | instid1(VALU_DEP_1)
	v_add_f64_e32 v[16:17], v[28:29], v[16:17]
	v_mul_f64_e32 v[16:17], v[20:21], v[16:17]
	s_delay_alu instid0(VALU_DEP_1) | instskip(NEXT) | instid1(VALU_DEP_1)
	v_add_f64_e32 v[18:19], v[22:23], v[16:17]
	v_add_f64_e64 v[20:21], v[18:19], -v[22:23]
	v_mul_f64_e32 v[22:23], v[18:19], v[18:19]
	s_delay_alu instid0(VALU_DEP_2) | instskip(NEXT) | instid1(VALU_DEP_2)
	v_add_f64_e64 v[16:17], v[16:17], -v[20:21]
	v_fma_f64 v[20:21], v[18:19], v[18:19], -v[22:23]
	s_delay_alu instid0(VALU_DEP_2) | instskip(NEXT) | instid1(VALU_DEP_1)
	v_add_f64_e32 v[24:25], v[16:17], v[16:17]
	v_fmac_f64_e32 v[20:21], v[18:19], v[24:25]
	s_delay_alu instid0(VALU_DEP_1) | instskip(NEXT) | instid1(VALU_DEP_1)
	v_add_f64_e32 v[24:25], v[22:23], v[20:21]
	v_fmamk_f64 v[28:29], v[24:25], 0x3fbdee674222de17, v[12:13]
	v_add_f64_e64 v[22:23], v[24:25], -v[22:23]
	v_mul_f64_e32 v[32:33], v[18:19], v[24:25]
	s_delay_alu instid0(VALU_DEP_3) | instskip(NEXT) | instid1(VALU_DEP_1)
	v_fmaak_f64 v[28:29], v[24:25], v[28:29], 0x3fbe25e43abe935a
	v_fmaak_f64 v[28:29], v[24:25], v[28:29], 0x3fc110ef47e6c9c2
	s_delay_alu instid0(VALU_DEP_1) | instskip(NEXT) | instid1(VALU_DEP_1)
	v_fmaak_f64 v[28:29], v[24:25], v[28:29], 0x3fc3b13bcfa74449
	v_fmaak_f64 v[28:29], v[24:25], v[28:29], 0x3fc745d171bf3c30
	v_add_f64_e64 v[20:21], v[20:21], -v[22:23]
	v_fma_f64 v[36:37], v[24:25], v[18:19], -v[32:33]
	s_delay_alu instid0(VALU_DEP_3) | instskip(NEXT) | instid1(VALU_DEP_1)
	v_fmaak_f64 v[28:29], v[24:25], v[28:29], 0x3fcc71c71c7792ce
	v_fmaak_f64 v[28:29], v[24:25], v[28:29], 0x3fd24924924920da
	s_delay_alu instid0(VALU_DEP_1) | instskip(NEXT) | instid1(VALU_DEP_1)
	v_fmaak_f64 v[28:29], v[24:25], v[28:29], 0x3fd999999999999c
	v_mul_f64_e32 v[30:31], v[24:25], v[28:29]
	v_fmac_f64_e32 v[36:37], v[24:25], v[16:17]
	v_ldexp_f64 v[16:17], v[16:17], 1
	s_delay_alu instid0(VALU_DEP_3) | instskip(NEXT) | instid1(VALU_DEP_3)
	v_fma_f64 v[22:23], v[24:25], v[28:29], -v[30:31]
	v_fmac_f64_e32 v[36:37], v[20:21], v[18:19]
	v_ldexp_f64 v[18:19], v[18:19], 1
	s_delay_alu instid0(VALU_DEP_3) | instskip(NEXT) | instid1(VALU_DEP_1)
	v_fmac_f64_e32 v[22:23], v[20:21], v[28:29]
	v_add_f64_e32 v[28:29], v[30:31], v[22:23]
	s_delay_alu instid0(VALU_DEP_1) | instskip(SKIP_1) | instid1(VALU_DEP_2)
	v_add_f64_e32 v[34:35], 0x3fe5555555555555, v[28:29]
	v_add_f64_e64 v[30:31], v[28:29], -v[30:31]
	v_add_f64_e32 v[38:39], 0xbfe5555555555555, v[34:35]
	s_delay_alu instid0(VALU_DEP_2) | instskip(NEXT) | instid1(VALU_DEP_2)
	v_add_f64_e64 v[22:23], v[22:23], -v[30:31]
	v_add_f64_e64 v[24:25], v[28:29], -v[38:39]
	s_delay_alu instid0(VALU_DEP_2) | instskip(NEXT) | instid1(VALU_DEP_1)
	v_add_f64_e32 v[22:23], 0x3c8543b0d5df274d, v[22:23]
	v_add_f64_e32 v[20:21], v[22:23], v[24:25]
	;; [unrolled: 1-line block ×3, first 2 shown]
	s_delay_alu instid0(VALU_DEP_2) | instskip(NEXT) | instid1(VALU_DEP_2)
	v_add_f64_e32 v[24:25], v[34:35], v[20:21]
	v_add_f64_e64 v[32:33], v[22:23], -v[32:33]
	s_delay_alu instid0(VALU_DEP_2) | instskip(SKIP_1) | instid1(VALU_DEP_3)
	v_add_f64_e64 v[28:29], v[34:35], -v[24:25]
	v_mul_f64_e32 v[30:31], v[22:23], v[24:25]
	v_add_f64_e64 v[32:33], v[36:37], -v[32:33]
	s_delay_alu instid0(VALU_DEP_3) | instskip(NEXT) | instid1(VALU_DEP_3)
	v_add_f64_e32 v[20:21], v[20:21], v[28:29]
	v_fma_f64 v[28:29], v[22:23], v[24:25], -v[30:31]
	s_delay_alu instid0(VALU_DEP_1) | instskip(SKIP_1) | instid1(VALU_DEP_2)
	v_fmac_f64_e32 v[28:29], v[22:23], v[20:21]
	v_cvt_f64_i32_e32 v[22:23], v5
	v_fmac_f64_e32 v[28:29], v[32:33], v[24:25]
	s_delay_alu instid0(VALU_DEP_2) | instskip(NEXT) | instid1(VALU_DEP_2)
	v_mul_f64_e32 v[32:33], 0x3fe62e42fefa39ef, v[22:23]
	v_add_f64_e32 v[20:21], v[30:31], v[28:29]
	s_delay_alu instid0(VALU_DEP_1) | instskip(SKIP_1) | instid1(VALU_DEP_2)
	v_add_f64_e32 v[24:25], v[18:19], v[20:21]
	v_add_f64_e64 v[30:31], v[20:21], -v[30:31]
	v_add_f64_e64 v[18:19], v[24:25], -v[18:19]
	s_delay_alu instid0(VALU_DEP_2) | instskip(SKIP_1) | instid1(VALU_DEP_3)
	v_add_f64_e64 v[28:29], v[28:29], -v[30:31]
	v_fma_f64 v[30:31], v[22:23], s[16:17], -v[32:33]
	v_add_f64_e64 v[18:19], v[20:21], -v[18:19]
	s_delay_alu instid0(VALU_DEP_3) | instskip(NEXT) | instid1(VALU_DEP_3)
	v_add_f64_e32 v[16:17], v[16:17], v[28:29]
	v_fmac_f64_e32 v[30:31], 0x3c7abc9e3b39803f, v[22:23]
	s_delay_alu instid0(VALU_DEP_2) | instskip(NEXT) | instid1(VALU_DEP_2)
	v_add_f64_e32 v[16:17], v[16:17], v[18:19]
	v_add_f64_e32 v[18:19], v[32:33], v[30:31]
	s_delay_alu instid0(VALU_DEP_2) | instskip(NEXT) | instid1(VALU_DEP_2)
	v_add_f64_e32 v[20:21], v[24:25], v[16:17]
	v_add_f64_e64 v[32:33], v[18:19], -v[32:33]
	s_delay_alu instid0(VALU_DEP_2) | instskip(SKIP_1) | instid1(VALU_DEP_3)
	v_add_f64_e32 v[22:23], v[18:19], v[20:21]
	v_add_f64_e64 v[24:25], v[20:21], -v[24:25]
	v_add_f64_e64 v[30:31], v[30:31], -v[32:33]
	s_delay_alu instid0(VALU_DEP_3) | instskip(NEXT) | instid1(VALU_DEP_3)
	v_add_f64_e64 v[28:29], v[22:23], -v[18:19]
	v_add_f64_e64 v[16:17], v[16:17], -v[24:25]
	s_delay_alu instid0(VALU_DEP_2) | instskip(SKIP_1) | instid1(VALU_DEP_3)
	v_add_f64_e64 v[34:35], v[22:23], -v[28:29]
	v_add_f64_e64 v[20:21], v[20:21], -v[28:29]
	v_add_f64_e32 v[24:25], v[30:31], v[16:17]
	s_delay_alu instid0(VALU_DEP_3) | instskip(NEXT) | instid1(VALU_DEP_1)
	v_add_f64_e64 v[18:19], v[18:19], -v[34:35]
	v_add_f64_e32 v[18:19], v[20:21], v[18:19]
	s_delay_alu instid0(VALU_DEP_3) | instskip(NEXT) | instid1(VALU_DEP_2)
	v_add_f64_e64 v[20:21], v[24:25], -v[30:31]
	v_add_f64_e32 v[18:19], v[24:25], v[18:19]
	s_delay_alu instid0(VALU_DEP_2) | instskip(SKIP_1) | instid1(VALU_DEP_3)
	v_add_f64_e64 v[24:25], v[24:25], -v[20:21]
	v_add_f64_e64 v[16:17], v[16:17], -v[20:21]
	v_add_f64_e32 v[28:29], v[22:23], v[18:19]
	s_delay_alu instid0(VALU_DEP_3) | instskip(NEXT) | instid1(VALU_DEP_2)
	v_add_f64_e64 v[20:21], v[30:31], -v[24:25]
	v_add_f64_e64 v[22:23], v[28:29], -v[22:23]
	s_delay_alu instid0(VALU_DEP_2) | instskip(NEXT) | instid1(VALU_DEP_2)
	v_add_f64_e32 v[16:17], v[16:17], v[20:21]
	v_add_f64_e64 v[18:19], v[18:19], -v[22:23]
	s_delay_alu instid0(VALU_DEP_1) | instskip(NEXT) | instid1(VALU_DEP_1)
	v_add_f64_e32 v[16:17], v[16:17], v[18:19]
	v_add_f64_e32 v[18:19], v[28:29], v[16:17]
	s_delay_alu instid0(VALU_DEP_1) | instskip(SKIP_1) | instid1(VALU_DEP_2)
	v_add_f64_e64 v[20:21], v[18:19], -v[28:29]
	v_mul_f64_e32 v[22:23], s[18:19], v[18:19]
	v_add_f64_e64 v[16:17], v[16:17], -v[20:21]
	s_delay_alu instid0(VALU_DEP_2) | instskip(SKIP_1) | instid1(VALU_DEP_2)
	v_fma_f64 v[18:19], s[18:19], v[18:19], -v[22:23]
	v_cmp_class_f64_e64 vcc_lo, v[22:23], 0x204
	v_fmac_f64_e32 v[18:19], s[18:19], v[16:17]
	s_delay_alu instid0(VALU_DEP_1) | instskip(NEXT) | instid1(VALU_DEP_1)
	v_add_f64_e32 v[16:17], v[22:23], v[18:19]
	v_dual_cndmask_b32 v21, v17, v23 :: v_dual_cndmask_b32 v20, v16, v22
	v_add_f64_e64 v[16:17], v[16:17], -v[22:23]
	v_mul_f64_e64 v[22:23], s[18:19], 0.5
	s_delay_alu instid0(VALU_DEP_3)
	v_mul_f64_e32 v[24:25], 0x3ff71547652b82fe, v[20:21]
	v_cmp_nlt_f64_e64 s0, 0x40900000, v[20:21]
	v_cmp_ngt_f64_e64 s1, 0xc090cc00, v[20:21]
	v_cmp_neq_f64_e64 vcc_lo, 0x7ff00000, |v[20:21]|
	v_add_f64_e64 v[16:17], v[18:19], -v[16:17]
	v_trunc_f64_e32 v[18:19], s[18:19]
	v_rndne_f64_e32 v[24:25], v[24:25]
	s_delay_alu instid0(VALU_DEP_3) | instskip(NEXT) | instid1(VALU_DEP_3)
	v_cndmask_b32_e32 v17, 0, v17, vcc_lo
	v_cmp_eq_f64_e64 s2, s[18:19], v[18:19]
	v_cndmask_b32_e32 v16, 0, v16, vcc_lo
	s_delay_alu instid0(VALU_DEP_4) | instskip(SKIP_2) | instid1(VALU_DEP_3)
	v_fmamk_f64 v[28:29], v[24:25], 0xbfe62e42fefa39ef, v[20:21]
	v_cvt_i32_f64_e32 v5, v[24:25]
	v_trunc_f64_e32 v[20:21], v[22:23]
	v_fmac_f64_e32 v[28:29], 0xbc7abc9e3b39803f, v[24:25]
	s_delay_alu instid0(VALU_DEP_1) | instskip(NEXT) | instid1(VALU_DEP_1)
	v_fmamk_f64 v[30:31], v[28:29], 0x3e5ade156a5dcb37, v[14:15]
	v_fmaak_f64 v[30:31], v[28:29], v[30:31], 0x3ec71dee623fde64
	s_delay_alu instid0(VALU_DEP_1) | instskip(NEXT) | instid1(VALU_DEP_1)
	v_fmaak_f64 v[30:31], v[28:29], v[30:31], 0x3efa01997c89e6b0
	v_fmaak_f64 v[30:31], v[28:29], v[30:31], 0x3f2a01a014761f6e
	s_delay_alu instid0(VALU_DEP_1) | instskip(NEXT) | instid1(VALU_DEP_1)
	v_fmaak_f64 v[30:31], v[28:29], v[30:31], 0x3f56c16c1852b7b0
	;; [unrolled: 3-line block ×4, first 2 shown]
	v_fma_f64 v[30:31], v[28:29], v[30:31], 1.0
	s_delay_alu instid0(VALU_DEP_1) | instskip(NEXT) | instid1(VALU_DEP_1)
	v_fma_f64 v[24:25], v[28:29], v[30:31], 1.0
	v_ldexp_f64 v[24:25], v[24:25], v5
	s_delay_alu instid0(VALU_DEP_1) | instskip(NEXT) | instid1(VALU_DEP_2)
	v_cndmask_b32_e64 v5, 0x7ff00000, v25, s0
	v_readfirstlane_b32 s19, v24
	s_and_b32 s0, s1, s0
	s_delay_alu instid0(SALU_CYCLE_1)
	s_and_b32 s0, s0, exec_lo
	v_cndmask_b32_e64 v19, 0, v5, s1
	s_cselect_b32 s1, s19, 0
	v_cmp_neq_f64_e64 s0, v[20:21], v[22:23]
	v_mov_b32_e32 v18, s1
	v_cmp_class_f64_e64 s19, s[20:21], 0x204
	s_delay_alu instid0(VALU_DEP_2) | instskip(SKIP_1) | instid1(VALU_DEP_2)
	v_fma_f64 v[16:17], v[18:19], v[16:17], v[18:19]
	v_cmp_class_f64_e64 vcc_lo, v[18:19], 0x204
	v_readfirstlane_b32 s24, v16
	s_and_b32 s25, vcc_lo, exec_lo
	v_cndmask_b32_e32 v5, v17, v19, vcc_lo
	v_cmp_lt_f64_e64 vcc_lo, s[20:21], 0
	s_cselect_b32 s1, s1, s24
	s_and_b32 s0, s2, s0
	s_delay_alu instid0(SALU_CYCLE_1) | instskip(SKIP_1) | instid1(SALU_CYCLE_1)
	s_and_b32 s24, s0, exec_lo
	s_cselect_b32 s24, s21, 0x3ff00000
	v_bfi_b32 v5, 0x7fffffff, v5, s24
	v_cmp_eq_f64_e64 s24, s[20:21], 0
	s_delay_alu instid0(VALU_DEP_2) | instskip(SKIP_3) | instid1(VALU_DEP_1)
	v_cndmask_b32_e64 v16, 0x7ff80000, v5, s2
	s_and_b32 s2, s2, exec_lo
	s_cselect_b32 s2, s1, 0
	s_and_b32 s25, vcc_lo, exec_lo
	v_cndmask_b32_e32 v5, v5, v16, vcc_lo
	s_cselect_b32 s1, s2, s1
	s_or_b32 vcc_lo, s24, s19
	s_and_b32 s2, s24, exec_lo
	s_cselect_b32 s2, 0, 0x7ff00000
	s_and_b32 s0, s0, exec_lo
	s_cselect_b32 s0, s21, 0
	s_delay_alu instid0(SALU_CYCLE_1) | instskip(SKIP_1) | instid1(VALU_DEP_2)
	v_mov_b32_e32 v16, s0
	v_cmp_o_f64_e64 s0, s[20:21], s[20:21]
	v_bfi_b32 v16, 0x7fffffff, s2, v16
	s_and_b32 s2, vcc_lo, exec_lo
	s_cselect_b32 s1, 0, s1
	s_delay_alu instid0(VALU_DEP_1) | instskip(SKIP_1) | instid1(VALU_DEP_2)
	v_cndmask_b32_e32 v5, v5, v16, vcc_lo
	v_cvt_f64_u32_e32 v[16:17], s3
	v_cndmask_b32_e64 v19, 0x7ff80000, v5, s0
	s_and_b32 s0, s0, exec_lo
	s_cselect_b32 s0, s1, 0
	s_add_co_i32 s3, s3, 4
	v_mov_b32_e32 v18, s0
	s_cmp_lg_u32 s3, 0x101
	s_delay_alu instid0(VALU_DEP_1) | instskip(SKIP_1) | instid1(VALU_DEP_2)
	v_div_scale_f64 v[20:21], null, v[16:17], v[16:17], v[18:19]
	v_div_scale_f64 v[28:29], vcc_lo, v[18:19], v[16:17], v[18:19]
	v_rcp_f64_e32 v[22:23], v[20:21]
	v_nop
	s_delay_alu instid0(TRANS32_DEP_1) | instskip(NEXT) | instid1(VALU_DEP_1)
	v_fma_f64 v[24:25], -v[20:21], v[22:23], 1.0
	v_fmac_f64_e32 v[22:23], v[22:23], v[24:25]
	s_delay_alu instid0(VALU_DEP_1) | instskip(NEXT) | instid1(VALU_DEP_1)
	v_fma_f64 v[24:25], -v[20:21], v[22:23], 1.0
	v_fmac_f64_e32 v[22:23], v[22:23], v[24:25]
	s_delay_alu instid0(VALU_DEP_1) | instskip(NEXT) | instid1(VALU_DEP_1)
	v_mul_f64_e32 v[24:25], v[28:29], v[22:23]
	v_fma_f64 v[20:21], -v[20:21], v[24:25], v[28:29]
	s_delay_alu instid0(VALU_DEP_1) | instskip(NEXT) | instid1(VALU_DEP_1)
	v_div_fmas_f64 v[20:21], v[20:21], v[22:23], v[24:25]
	v_div_fixup_f64 v[16:17], v[20:21], v[16:17], v[18:19]
	s_delay_alu instid0(VALU_DEP_1)
	v_add_f64_e32 v[10:11], v[10:11], v[16:17]
	s_cbranch_scc1 .LBB0_25
; %bb.26:
	global_load_b64 v[12:13], v4, s[6:7] scale_offset
	v_dual_sub_nc_u32 v1, v1, v26 :: v_dual_add_nc_u32 v0, 1, v0
	v_mul_f64_e32 v[2:3], 0x4023bd3cc9be45de, v[2:3]
	v_div_scale_f64 v[30:31], vcc_lo, -1.0, s[4:5], -1.0
	s_delay_alu instid0(VALU_DEP_3) | instskip(NEXT) | instid1(VALU_DEP_4)
	v_cvt_f64_u32_e32 v[14:15], v1
	v_cvt_f64_u32_e32 v[0:1], v0
	s_delay_alu instid0(VALU_DEP_2) | instskip(NEXT) | instid1(VALU_DEP_1)
	v_mul_f64_e32 v[10:11], v[10:11], v[14:15]
	v_dual_mul_f64 v[0:1], v[10:11], v[0:1] :: v_dual_bitop2_b32 v5, 1, v26 bitop3:0x54
	s_delay_alu instid0(VALU_DEP_1) | instskip(NEXT) | instid1(VALU_DEP_1)
	v_cvt_f64_u32_e32 v[10:11], v5
	v_mul_f64_e32 v[2:3], v[2:3], v[10:11]
	v_div_scale_f64 v[10:11], null, s[4:5], s[4:5], -1.0
	s_delay_alu instid0(VALU_DEP_2) | instskip(NEXT) | instid1(VALU_DEP_2)
	v_div_scale_f64 v[16:17], null, 0x40080000, 0x40080000, v[2:3]
	v_rcp_f64_e32 v[18:19], v[10:11]
	s_delay_alu instid0(VALU_DEP_1) | instskip(NEXT) | instid1(TRANS32_DEP_2)
	v_rcp_f64_e32 v[22:23], v[16:17]
	v_fma_f64 v[24:25], -v[10:11], v[18:19], 1.0
	s_delay_alu instid0(TRANS32_DEP_1) | instskip(NEXT) | instid1(VALU_DEP_2)
	v_fma_f64 v[28:29], -v[16:17], v[22:23], 1.0
	v_fmac_f64_e32 v[18:19], v[18:19], v[24:25]
	s_delay_alu instid0(VALU_DEP_2) | instskip(NEXT) | instid1(VALU_DEP_2)
	v_fmac_f64_e32 v[22:23], v[22:23], v[28:29]
	v_fma_f64 v[24:25], -v[10:11], v[18:19], 1.0
	s_delay_alu instid0(VALU_DEP_2) | instskip(NEXT) | instid1(VALU_DEP_2)
	v_fma_f64 v[28:29], -v[16:17], v[22:23], 1.0
	v_fmac_f64_e32 v[18:19], v[18:19], v[24:25]
	s_delay_alu instid0(VALU_DEP_2) | instskip(NEXT) | instid1(VALU_DEP_2)
	v_fmac_f64_e32 v[22:23], v[22:23], v[28:29]
	v_mul_f64_e32 v[28:29], v[30:31], v[18:19]
	s_wait_loadcnt 0x0
	v_mul_f64_e32 v[0:1], v[0:1], v[12:13]
	s_delay_alu instid0(VALU_DEP_2) | instskip(NEXT) | instid1(VALU_DEP_2)
	v_fma_f64 v[10:11], -v[10:11], v[28:29], v[30:31]
	v_div_scale_f64 v[14:15], null, 0x40080000, 0x40080000, v[0:1]
	v_div_scale_f64 v[24:25], s0, v[0:1], 0x40080000, v[0:1]
	s_delay_alu instid0(VALU_DEP_3) | instskip(SKIP_1) | instid1(VALU_DEP_3)
	v_div_fmas_f64 v[10:11], v[10:11], v[18:19], v[28:29]
	s_mov_b32 vcc_lo, s0
	v_rcp_f64_e32 v[20:21], v[14:15]
	s_delay_alu instid0(VALU_DEP_1) | instskip(NEXT) | instid1(TRANS32_DEP_1)
	v_div_fixup_f64 v[10:11], v[10:11], s[4:5], -1.0
	v_fma_f64 v[26:27], -v[14:15], v[20:21], 1.0
	s_delay_alu instid0(VALU_DEP_2) | instskip(NEXT) | instid1(VALU_DEP_2)
	v_mul_f64_e32 v[6:7], v[10:11], v[6:7]
	v_fmac_f64_e32 v[20:21], v[20:21], v[26:27]
	s_delay_alu instid0(VALU_DEP_1) | instskip(NEXT) | instid1(VALU_DEP_1)
	v_fma_f64 v[26:27], -v[14:15], v[20:21], 1.0
	v_fmac_f64_e32 v[20:21], v[20:21], v[26:27]
	v_div_scale_f64 v[26:27], s1, v[2:3], 0x40080000, v[2:3]
	s_delay_alu instid0(VALU_DEP_2) | instskip(NEXT) | instid1(VALU_DEP_2)
	v_mul_f64_e32 v[32:33], v[24:25], v[20:21]
	v_mul_f64_e32 v[34:35], v[26:27], v[22:23]
	s_delay_alu instid0(VALU_DEP_2) | instskip(NEXT) | instid1(VALU_DEP_2)
	v_fma_f64 v[14:15], -v[14:15], v[32:33], v[24:25]
	v_fma_f64 v[16:17], -v[16:17], v[34:35], v[26:27]
	s_delay_alu instid0(VALU_DEP_2) | instskip(SKIP_2) | instid1(VALU_DEP_2)
	v_div_fmas_f64 v[14:15], v[14:15], v[20:21], v[32:33]
	s_mov_b32 vcc_lo, s1
	s_mov_b64 s[0:1], 0xbf9a47ea0473acd1
	v_div_fmas_f64 v[16:17], v[16:17], v[22:23], v[34:35]
	s_delay_alu instid0(VALU_DEP_2) | instskip(NEXT) | instid1(VALU_DEP_2)
	v_div_fixup_f64 v[0:1], v[14:15], 0x40080000, v[0:1]
	v_div_fixup_f64 v[2:3], v[16:17], 0x40080000, v[2:3]
	s_delay_alu instid0(VALU_DEP_1) | instskip(NEXT) | instid1(VALU_DEP_1)
	v_add_f64_e32 v[2:3], 0x3fec5819758c06c8, v[2:3]
	v_mul_f64_e32 v[2:3], v[2:3], v[12:13]
	s_delay_alu instid0(VALU_DEP_1) | instskip(SKIP_1) | instid1(VALU_DEP_2)
	v_fmac_f64_e32 v[2:3], 0x3fec5819758c06c8, v[8:9]
	v_mul_f64_e64 v[8:9], s[10:11], s[0:1]
	v_fmac_f64_e32 v[2:3], 0x3fec5819758c06c8, v[0:1]
	s_delay_alu instid0(VALU_DEP_1)
	v_fmac_f64_e32 v[6:7], v[8:9], v[2:3]
	global_store_b64 v4, v[6:7], s[8:9] scale_offset
.LBB0_27:
	s_wait_xcnt 0x0
	s_or_b32 exec_lo, exec_lo, s23
	s_and_not1_saveexec_b32 s0, s22
	s_cbranch_execz .LBB0_2
.LBB0_28:
	s_mov_b64 s[0:1], 0xc008000000000000
	s_wait_kmcnt 0x0
	v_div_scale_f64 v[6:7], vcc_lo, s[10:11], 0xc0080000, s[10:11]
	v_div_scale_f64 v[0:1], null, s[0:1], s[0:1], s[10:11]
	v_mov_b32_e32 v12, 0
	s_delay_alu instid0(VALU_DEP_2) | instskip(SKIP_1) | instid1(TRANS32_DEP_1)
	v_rcp_f64_e32 v[2:3], v[0:1]
	v_nop
	v_fma_f64 v[4:5], -v[0:1], v[2:3], 1.0
	s_delay_alu instid0(VALU_DEP_1) | instskip(NEXT) | instid1(VALU_DEP_1)
	v_fmac_f64_e32 v[2:3], v[2:3], v[4:5]
	v_fma_f64 v[4:5], -v[0:1], v[2:3], 1.0
	s_delay_alu instid0(VALU_DEP_1) | instskip(NEXT) | instid1(VALU_DEP_1)
	v_fmac_f64_e32 v[2:3], v[2:3], v[4:5]
	v_mul_f64_e32 v[4:5], v[6:7], v[2:3]
	s_delay_alu instid0(VALU_DEP_1) | instskip(NEXT) | instid1(VALU_DEP_1)
	v_fma_f64 v[0:1], -v[0:1], v[4:5], v[6:7]
	v_div_fmas_f64 v[0:1], v[0:1], v[2:3], v[4:5]
	global_load_b64 v[4:5], v12, s[6:7] offset:8
	v_div_fixup_f64 v[0:1], v[0:1], 0xc0080000, s[10:11]
	s_delay_alu instid0(VALU_DEP_1) | instskip(NEXT) | instid1(VALU_DEP_1)
	v_div_scale_f64 v[2:3], null, s[4:5], s[4:5], v[0:1]
	v_rcp_f64_e32 v[6:7], v[2:3]
	v_nop
	s_delay_alu instid0(TRANS32_DEP_1) | instskip(NEXT) | instid1(VALU_DEP_1)
	v_fma_f64 v[8:9], -v[2:3], v[6:7], 1.0
	v_fmac_f64_e32 v[6:7], v[6:7], v[8:9]
	s_delay_alu instid0(VALU_DEP_1) | instskip(NEXT) | instid1(VALU_DEP_1)
	v_fma_f64 v[8:9], -v[2:3], v[6:7], 1.0
	v_fmac_f64_e32 v[6:7], v[6:7], v[8:9]
	v_div_scale_f64 v[8:9], vcc_lo, v[0:1], s[4:5], v[0:1]
	s_delay_alu instid0(VALU_DEP_1) | instskip(NEXT) | instid1(VALU_DEP_1)
	v_mul_f64_e32 v[10:11], v[8:9], v[6:7]
	v_fma_f64 v[2:3], -v[2:3], v[10:11], v[8:9]
	s_delay_alu instid0(VALU_DEP_1) | instskip(NEXT) | instid1(VALU_DEP_1)
	v_div_fmas_f64 v[2:3], v[2:3], v[6:7], v[10:11]
	v_div_fixup_f64 v[0:1], v[2:3], s[4:5], v[0:1]
	v_mov_b64_e32 v[2:3], 1.0
	s_wait_loadcnt 0x0
	s_delay_alu instid0(VALU_DEP_1) | instskip(NEXT) | instid1(VALU_DEP_1)
	v_fmamk_f64 v[2:3], v[4:5], 0x3fb999999999999a, v[2:3]
	v_mul_f64_e32 v[0:1], v[0:1], v[2:3]
	global_store_b64 v12, v[0:1], s[8:9]
	s_endpgm
	.section	.rodata,"a",@progbits
	.p2align	6, 0x0
	.amdhsa_kernel _Z5RHS_fdPKdPd
		.amdhsa_group_segment_fixed_size 0
		.amdhsa_private_segment_fixed_size 0
		.amdhsa_kernarg_size 24
		.amdhsa_user_sgpr_count 2
		.amdhsa_user_sgpr_dispatch_ptr 0
		.amdhsa_user_sgpr_queue_ptr 0
		.amdhsa_user_sgpr_kernarg_segment_ptr 1
		.amdhsa_user_sgpr_dispatch_id 0
		.amdhsa_user_sgpr_kernarg_preload_length 0
		.amdhsa_user_sgpr_kernarg_preload_offset 0
		.amdhsa_user_sgpr_private_segment_size 0
		.amdhsa_wavefront_size32 1
		.amdhsa_uses_dynamic_stack 0
		.amdhsa_enable_private_segment 0
		.amdhsa_system_sgpr_workgroup_id_x 1
		.amdhsa_system_sgpr_workgroup_id_y 0
		.amdhsa_system_sgpr_workgroup_id_z 0
		.amdhsa_system_sgpr_workgroup_info 0
		.amdhsa_system_vgpr_workitem_id 0
		.amdhsa_next_free_vgpr 44
		.amdhsa_next_free_sgpr 32
		.amdhsa_named_barrier_count 0
		.amdhsa_reserve_vcc 1
		.amdhsa_float_round_mode_32 0
		.amdhsa_float_round_mode_16_64 0
		.amdhsa_float_denorm_mode_32 3
		.amdhsa_float_denorm_mode_16_64 3
		.amdhsa_fp16_overflow 0
		.amdhsa_memory_ordered 1
		.amdhsa_forward_progress 1
		.amdhsa_inst_pref_size 38
		.amdhsa_round_robin_scheduling 0
		.amdhsa_exception_fp_ieee_invalid_op 0
		.amdhsa_exception_fp_denorm_src 0
		.amdhsa_exception_fp_ieee_div_zero 0
		.amdhsa_exception_fp_ieee_overflow 0
		.amdhsa_exception_fp_ieee_underflow 0
		.amdhsa_exception_fp_ieee_inexact 0
		.amdhsa_exception_int_div_zero 0
	.end_amdhsa_kernel
	.text
.Lfunc_end0:
	.size	_Z5RHS_fdPKdPd, .Lfunc_end0-_Z5RHS_fdPKdPd
                                        ; -- End function
	.set _Z5RHS_fdPKdPd.num_vgpr, 44
	.set _Z5RHS_fdPKdPd.num_agpr, 0
	.set _Z5RHS_fdPKdPd.numbered_sgpr, 32
	.set _Z5RHS_fdPKdPd.num_named_barrier, 0
	.set _Z5RHS_fdPKdPd.private_seg_size, 0
	.set _Z5RHS_fdPKdPd.uses_vcc, 1
	.set _Z5RHS_fdPKdPd.uses_flat_scratch, 0
	.set _Z5RHS_fdPKdPd.has_dyn_sized_stack, 0
	.set _Z5RHS_fdPKdPd.has_recursion, 0
	.set _Z5RHS_fdPKdPd.has_indirect_call, 0
	.section	.AMDGPU.csdata,"",@progbits
; Kernel info:
; codeLenInByte = 4748
; TotalNumSgprs: 34
; NumVgprs: 44
; ScratchSize: 0
; MemoryBound: 0
; FloatMode: 240
; IeeeMode: 1
; LDSByteSize: 0 bytes/workgroup (compile time only)
; SGPRBlocks: 0
; VGPRBlocks: 2
; NumSGPRsForWavesPerEU: 34
; NumVGPRsForWavesPerEU: 44
; NamedBarCnt: 0
; Occupancy: 16
; WaveLimiterHint : 0
; COMPUTE_PGM_RSRC2:SCRATCH_EN: 0
; COMPUTE_PGM_RSRC2:USER_SGPR: 2
; COMPUTE_PGM_RSRC2:TRAP_HANDLER: 0
; COMPUTE_PGM_RSRC2:TGID_X_EN: 1
; COMPUTE_PGM_RSRC2:TGID_Y_EN: 0
; COMPUTE_PGM_RSRC2:TGID_Z_EN: 0
; COMPUTE_PGM_RSRC2:TIDIG_COMP_CNT: 0
	.text
	.p2alignl 7, 3214868480
	.fill 96, 4, 3214868480
	.section	.AMDGPU.gpr_maximums,"",@progbits
	.set amdgpu.max_num_vgpr, 0
	.set amdgpu.max_num_agpr, 0
	.set amdgpu.max_num_sgpr, 0
	.text
	.type	_ZL17double_fact_table,@object  ; @_ZL17double_fact_table
	.section	.rodata,"a",@progbits
	.p2align	4, 0x0
_ZL17double_fact_table:
	.quad	0x3ff0000000000000              ; double 1
	.quad	0x3ff0000000000000              ; double 1
	;; [unrolled: 1-line block ×31, first 2 shown]
	.quad	0x43854e176b1751a9              ; double 1.9189878396251062E+17
	.quad	0x43b3077775800000              ; double 1.371195958099968E+18
	.quad	0x43d5f88826700c36              ; double 6.3326598707628503E+18
	.quad	0x440437eeecd80000              ; double 4.6620662575398912E+19
	.quad	0x442807d4ea0a8d5b              ; double 2.2164309547669976E+20
	.quad	0x4456beecca730000              ; double 1.6783438527143608E+21
	.quad	0x447bc90e2e9c3372              ; double 8.2007945326378919E+21
	.quad	0x44ab02b930689000              ; double 6.3777066403145712E+22
	.quad	0x44d0ee84a4672f59              ; double 3.1983098677287775E+23
	.quad	0x4500e1b3be415a00              ; double 2.5510826561258285E+24
	.quad	0x4525b199f2a434aa              ; double 1.3113070457687988E+25
	.quad	0x4556283be9b5c620              ; double 1.071454715572848E+26
	.quad	0x457d26a6de0ca6c5              ; double 5.6386202968058351E+26
	.quad	0x45ae77526159f06c              ; double 4.714400748520531E+27
	.quad	0x45d47f2d5420e542              ; double 2.5373791335626256E+28
	.quad	0x4605e5c335f8a4ce              ; double 2.1686243443194444E+29
	.quad	0x462e1aca939050ba              ; double 1.1925681927744342E+30
	.quad	0x46606c52687a7b9a              ; double 1.0409396852733332E+31
	.quad	0x46870c8318fa7dce              ; double 5.8435841445947271E+31
	.quad	0x46b9a940c33f6121              ; double 5.2046984263666663E+32
	.quad	0x46e25df877e79c40              ; double 2.9802279137433107E+33
	.quad	0x4714d9849ea37eeb              ; double 2.7064431817106665E+34
	.quad	0x473e6ba386979aca              ; double 1.5795207942839547E+35
	.quad	0x47719787e5d9f316              ; double 1.4614793181237598E+36
	.quad	0x479a248087aa4906              ; double 8.6873643685617512E+36
	.quad	0x47cec92dd23d6967              ; double 8.1842841814930556E+37
	.quad	0x47f7488278d3a909              ; double 4.9517976900801979E+38
	.quad	0x482be6518687a785              ; double 4.746884825265972E+39
	.quad	0x485576d847631fd5              ; double 2.9215606371473171E+40
	.quad	0x488a27ec6e1f2d0d              ; double 2.8481308951595834E+41
	.quad	0x48b47546240a7a57              ; double 1.7821519886598634E+42
	.quad	0x48e956ad0aae33a4              ; double 1.7658411549989415E+43
	.quad	0x491423710b7a506d              ; double 1.1227557528557138E+44
	.quad	0x494956ad0aae33a4              ; double 1.1301383391993226E+45
	.quad	0x497473fecfa839af              ; double 7.2979123935621403E+45
	.quad	0x49aa21627303a541              ; double 7.4589130387155289E+46
	.quad	0x49d5696ec1641c63              ; double 4.8896013036866339E+47
	.quad	0x4a0bc3789a33df96              ; double 5.0720608663265603E+48
	.quad	0x4a3715ab687fee9b              ; double 3.3738248995437775E+49
	.quad	0x4a6e5dcbe8a8bc8c              ; double 3.5504426064285922E+50
	.quad	0x4a999c0a27edecb4              ; double 2.395415678676082E+51
	.quad	0x4ad114c2b2deea0f              ; double 2.5563186766285865E+52
	.quad	0x4afd35fb958b61fd              ; double 1.7486534454335398E+53
	.quad	0x4b33c0011ed1bea1              ; double 1.8916758207051539E+54
	.quad	0x4b611da1699fab6a              ; double 1.3114900840751548E+55
	.quad	0x4b9774015499125f              ; double 1.4376736237359169E+56
	.quad	0x4bc497a633141a3c              ; double 1.0098473647378693E+57
	.quad	0x4bfc95619f1a8e64              ; double 1.1213854265140152E+58
	.quad	0x4c296b31270cd062              ; double 7.9777941814291672E+58
	.quad	0x4c61dd5d037098fe              ; double 8.9710834121121208E+59
	.quad	0x4c9015d51ab61bde              ; double 6.4620132869576254E+60
	.quad	0x4cc6e39f2c684406              ; double 7.3562883979319398E+61
	.quad	0x4cf4dc505ea42c24              ; double 5.3634710281748292E+62
	.quad	0x4d2e0ac0ea48d948              ; double 6.1792822542628295E+63
	.quad	0x4d5bb49abdb20aa0              ; double 4.5589503739486049E+64
	.quad	0x4d942f399d68f1fc              ; double 5.314182738666033E+65
	.quad	0x4dc2d4c12cef0339              ; double 3.9662868253352865E+66
	.quad	0x4dfbc0ef38704cbb              ; double 4.6764808100261093E+67
	.quad	0x4e2a2fdca27c607b              ; double 3.5299952745484048E+68
	.quad	0x4e6383a833aef5f3              ; double 4.208832729023498E+69
	.quad	0x4e929e06db846c97              ; double 3.2122956998390481E+70
	.quad	0x4ecc0d41ca4b818e              ; double 3.8721261107016185E+71
	.quad	0x4efb0da1f6fc6dcc              ; double 2.987435000850315E+72
	.quad	0x4f3499bc508f7324              ; double 3.6397985440595212E+73
	.quad	0x4f64141e354f597d              ; double 2.838063250807799E+74
	.quad	0x4f9ee69a78d72cb6              ; double 3.4942066022971404E+75
	.quad	0x4fce6e7dc8cc43a2              ; double 2.7529213532835652E+76
	.quad	0x5007a88e4484be3b              ; double 3.4243224702511974E+77
	.quad	0x50378975494dfc4f              ; double 2.7253921397507295E+78
	.quad	0x50727baf2587b49e              ; double 3.4243224702511973E+79
	.quad	0x50a292768bd78916              ; double 2.7526460611482366E+80
	.quad	0x50dd751f23d047dc              ; double 3.4928089196562214E+81
	.quad	0x510de3b6c90ee0a0              ; double 2.8352254429826839E+82
	.quad	0x5147ef294d193a63              ; double 3.6325212764424704E+83
	.quad	0x517884cbf0ee3443              ; double 2.976986715131818E+84
	.quad	0x51b3d20e33d8e45a              ; double 3.8504725530290186E+85
	.quad	0x51e47f027b671fb0              ; double 3.1853757851910452E+86
	.quad	0x5220b93bfbbf00ac              ; double 4.1585103572713401E+87
	.quad	0x525174281d15d0fc              ; double 3.4720596058582394E+88
	.quad	0x528cbe5f18b04928              ; double 4.5743613929984744E+89
	.quad	0x52be45759271d675              ; double 3.8539861625026457E+90
	.quad	0x52f92693359a4003              ; double 5.1232847601582913E+91
	.quad	0x532ab951cb487f53              ; double 4.3550043636279895E+92
	.quad	0x5366665b1bbd6102              ; double 5.8405446265804514E+93
	.quad	0x5398027f7ca32265              ; double 5.0082550181721882E+94
	.quad	0x53d44cc291239fea              ; double 6.7750317668333239E+95
	.quad	0x5405f24887ed1d70              ; double 5.8596583712614599E+96
	.quad	0x5442b6c35dccd76c              ; double 7.9945374848633226E+97
	.quad	0x5474673f6e5e715e              ; double 6.9729934618011371E+98
	.quad	0x54b18b5727f009f5              ; double 9.5934449818359866E+99
	.quad	0x54e34999f655472b              ; double 8.4373220887793761E+100
	.quad	0x5520b8cf1210c97e              ; double 1.1704002877839905E+102
	.quad	0x555288b9f2b5f264              ; double 1.0377906169198634E+103
	.quad	0x5590330899804332              ; double 1.4512963568521482E+104
	.quad	0x55c219859705aeb5              ; double 1.2972382711498291E+105
	.quad	0x55ffe478ee34844a              ; double 1.8286334096337066E+106
	.quad	0x5631f5528bd7a358              ; double 1.6474926043602831E+107
	.quad	0x566fe478ee34844a              ; double 2.3406507643311445E+108
	.quad	0x56a2193d30ef529f              ; double 2.1252654596247653E+109
	.quad	0x56e0320568f6ab2e              ; double 3.0428459936304881E+110
	.quad	0x571285d4a014ee8e              ; double 2.7840977521084421E+111
	.quad	0x5750b395943e6087              ; double 4.0165567115922439E+112
	.quad	0x57833f0eee55bfe0              ; double 3.7028500103042284E+113
	.quad	0x57c17c0097314d0d              ; double 5.3821859935336065E+114
	.quad	0x57f44c81bf5e705e              ; double 4.9988475139107081E+115
	.quad	0x583293c0a0a461de              ; double 7.3197729512057051E+116
	.quad	0x5865b9e2ded31445              ; double 6.8484210940576705E+117
	.quad	0x58a4074bad313983              ; double 1.0101286672663872E+119
	.quad	0x58d797dc5df93803              ; double 9.5193053207401621E+119
	.quad	0x5915e7fac56dd6e8              ; double 1.4141801341729423E+121
	.quad	0x5949fd48bf8487b3              ; double 1.3422220502243628E+122
	.quad	0x59884d5a3305da69              ; double 2.008135790525578E+123
	.quad	0x59bd08f745f60f9a              ; double 1.9193775318208388E+124
	.quad	0x59fb5705796695b6              ; double 2.8917155383568322E+125
	.quad	0x5a3072140ea05ed6              ; double 2.7830974211402161E+126
	.quad	0x5a6f2f423e7902c4              ; double 4.2219046860009753E+127
	.quad	0x5aa2e30308cc2cea              ; double 4.0911532090761179E+128
	.quad	0x5ae207524c1df599              ; double 6.248418935281443E+129
	.quad	0x5b15fc41883dac48              ; double 6.0958182815234153E+130
	.quad	0x5b55209471331bd0              ; double 9.3726284029221656E+131
	.quad	0x5b89ef954eb8c13d              ; double 9.2046856051003571E+132
	.quad	0x5bc916b0466cb107              ; double 1.4246395172441692E+134
	.quad	0x5bff00607818d6fb              ; double 1.4083168975803547E+135
	.quad	0x5c3e2f4c14bac4fc              ; double 2.1939448565560204E+136
	.quad	0x5c72c53a68b70a2a              ; double 2.1828911912495497E+137
	.quad	0x5cb264d25ca1d009              ; double 3.4225539762273915E+138
	.quad	0x5ce705e9a4708278              ; double 3.4271391702617933E+139
	.quad	0x5d26b473aa57bccc              ; double 5.4076352824392793E+140
	.quad	0x5d5c99583a43c211              ; double 5.4491512807162513E+141
	.quad	0x5d9c619094edabff              ; double 8.6522164519028469E+142
	.quad	0x5dd1fc707ca49d0c              ; double 8.7731335619531634E+143
	.quad	0x5e11f5bd7e3e66d7              ; double 1.4016590652082611E+145
	.quad	0x5e46e7773eb99ffe              ; double 1.4300207705983658E+146
	.quad	0x5e8702dac9bff3c4              ; double 2.2987208669415484E+147
	.quad	0x5ebd865fb6db483d              ; double 2.3595342714873035E+148
	.quad	0x5efdd7b3bda4f022              ; double 3.8158766391229702E+149
	.quad	0x5f3342a870490c20              ; double 3.9404222333837969E+150
	.quad	0x5f73958df4743d96              ; double 6.4106727537265896E+151
	.quad	0x5fa96e0264407202              ; double 6.6593135744186166E+152
	.quad	0x5fea02a088aa61cb              ; double 1.0898143681335202E+154
	.quad	0x6020fc7b98f70c27              ; double 1.1387426212255834E+155
	.quad	0x606179c3dbd279b5              ; double 1.874480713189655E+156
	.quad	0x6096f53f0cbde66d              ; double 1.9700247347202593E+157
	.quad	0x60d7c1863ed21d72              ; double 3.2615964409499996E+158
	.quad	0x610f634c336ba109              ; double 3.4475432857604537E+159
	.quad	0x6150550c4b30743e              ; double 5.7404097360719989E+160
	.quad	0x6185b3a7af8d6a58              ; double 6.1021516157960039E+161
	.quad	0x61c6b645188f61a6              ; double 1.0217929330208158E+163
	.quad	0x61fe593c7f7fc2b6              ; double 1.0922851392274846E+164
	.quad	0x623ff0512a89a152              ; double 1.8392272794374685E+165
	.quad	0x62757517c62554ab              ; double 1.9770361020017472E+166
	.quad	0x62b6b4d9b43dd8b0              ; double 3.3473936485761925E+167
	.quad	0x62eead67fd495f0c              ; double 3.6179760666631971E+168
	.quad	0x633051fc798c73bf              ; double 6.1592043133801949E+169
	.quad	0x63662b50260a05b0              ; double 6.693255723326915E+170
	.quad	0x63a7b722e0a01831              ; double 1.1456120022887162E+172
	.quad	0x63e031a38bc95228              ; double 1.2516388202621332E+173
	.quad	0x64216a7d9cf591c4              ; double 2.1537505643027864E+174
	.quad	0x6457e94b7c67434e              ; double 2.3655973702954314E+175
	.quad	0x6499da1274fc845f              ; double 4.0921260721752941E+176
	.quad	0x64d1d70f51d10b37              ; double 4.5182909772642738E+177
	.quad	0x6513638dd7bd6347              ; double 7.8568820585765644E+178
	.quad	0x654ae645195d32ea              ; double 8.7203015861200498E+179
	.quad	0x658d62e2fafb0a78              ; double 1.5242351193638536E+181
	.quad	0x65c47d66a251fdc8              ; double 1.7004588092934096E+182
	.quad	0x66067fb5c8283404              ; double 2.9875008339531531E+183
	.quad	0x663f88fff5d23096              ; double 3.349903854308017E+184
	.quad	0x668166c698cf183b              ; double 5.9152516512272429E+185
	.quad	0x66b8837ef81663c4              ; double 6.6663086700729533E+186
	.quad	0x66fb30964ec395dc              ; double 1.1830503302454486E+188
	.quad	0x67333f3eb0c99455              ; double 1.3399280426846636E+189
	.quad	0x677574569a265440              ; double 2.3897616670958062E+190
	.quad	0x67ae864d6c5fb13f              ; double 2.7200539266498673E+191
	.quad	0x67f118b502d68b23              ; double 4.8751138008754447E+192
	.quad	0x6828718bffc8a0f0              ; double 5.5761105496322283E+193
	.quad	0x686b83c3509147ec              ; double 1.0042734429803416E+195
	.quad	0x68a3c3d033d33a22              ; double 1.1542548837738713E+196
	.quad	0x68e65b0eb1760a70              ; double 2.0888887613991106E+197
	.quad	0x692022dcfa4f7276              ; double 2.4123927070873911E+198
	.quad	0x696256b20d92d490              ; double 4.3866663989381323E+199
	.quad	0x699a9978449ef6ae              ; double 5.0901486119543948E+200
	.quad	0x69de5f96e67b300e              ; double 9.2997327657488399E+201
	.quad	0x6a1621b11118433f              ; double 1.0842016543462861E+203
	.quad	0x6a5963e824aafa2c              ; double 1.9901428118702518E+204
	.quad	0x6a92964bb55b607a              ; double 2.3310335568445152E+205
	.quad	0x6ad56c4bdef04315              ; double 4.2987084736397438E+206
	.quad	0x6b0f82cc5974e98e              ; double 5.0583428183525975E+207
	.quad	0x6b523e389bd89920              ; double 9.3711844725346417E+208
	.quad	0x6b8af4e4d08703cd              ; double 1.1077770772192189E+210
	.quad	0x6bcf5af14bdc472f              ; double 2.0616605839576212E+211
	.quad	0x6c07456988048e48              ; double 2.4481873406544739E+212
	.quad	0x6c4b30dd3fc905ba              ; double 4.5768864963859186E+213
	.quad	0x6c844576ed7bf7f0              ; double 5.459457769659476E+214
	.quad	0x6cc7cac197cfe503              ; double 1.0252225751904458E+216
	.quad	0x6d01d10d86b9f4ea              ; double 1.2283779981733821E+217
	.quad	0x6d4500fee805882d              ; double 2.3170030199304077E+218
	.quad	0x6d7f98bdfcedc857              ; double 2.7884180558535774E+219
	.quad	0x6dc2b4e306a4ed48              ; double 5.2827668854413294E+220
	.quad	0x6dfc43a1f340b436              ; double 6.3854773479046924E+221
	.quad	0x6e40ce83f7f82d2f              ; double 1.2150363836515058E+223
	.quad	0x6e798107227f629d              ; double 1.475045267365984E+224
	.quad	0x6ebe764f3171d1e4              ; double 2.8188844100714931E+225
	.quad	0x6ef7366f7e65f0c1              ; double 3.4368554729627428E+226
	.quad	0x6f3bd824633209db              ; double 6.5961895195672945E+227
	.quad	0x6f754ef859079401              ; double 8.0766103614624453E+228
	.quad	0x6fb9ab418b722116              ; double 1.5567007266178815E+230
	.quad	0x6ff3ba1bea6c0405              ; double 1.9141566556665996E+231
	.quad	0x7037dd36efa41ac2              ; double 3.7049477293505578E+232
	.quad	0x70726ac00fdad7c1              ; double 4.5748344070431733E+233
	.quad	0x70b65f6380a9d916              ; double 8.8918745504413388E+234
	.quad	0x70f1567eceed051c              ; double 1.1025350920974046E+236
	.quad	0x7135262c0fa08f37              ; double 2.1518336412068041E+237
	.quad	0x7170751a5e6afbda              ; double 2.6791602737966934E+238
	.quad	0x71b42861fee50880              ; double 5.2504740845446015E+239
	.quad	0x71ef802478b8c60f              ; double 6.5639426708018987E+240
	.quad	0x72335ece2af0162b              ; double 1.291616624797972E+242
	.quad	0x726e64a3307a4718              ; double 1.6212938396880689E+243
	.quad	0x72b2c3d7b998957a              ; double 3.2032092294989707E+244
	.quad	0x72ed8fe2ba26ef27              ; double 4.0370216608232918E+245
	.quad	0x73325340ab3f01f9              ; double 8.0080230737474265E+246
	.quad	0x736cfc134c842c7b              ; double 1.0132924368666462E+248
	.quad	0x73b209f3a89205f1              ; double 2.0180218145843514E+249
	.quad	0x73eca51f129e9ff6              ; double 2.5636298652726151E+250
	.quad	0x7431e5dfc140e1e5              ; double 5.1257754090442526E+251
	.quad	0x746c8879f38c0156              ; double 6.5372561564451684E+252
	.quad	0x74b1e5dfc140e1e5              ; double 1.3121985047153287E+254
	.quad	0x74eca5026d7f8d57              ; double 1.6800748322064082E+255
	.quad	0x753209ab80c363a9              ; double 3.3854721421655481E+256
	.quad	0x756cfaf174c80bff              ; double 4.3513938154145973E+257
	.quad	0x75b251d22ec67138              ; double 8.8022275696304255E+258
	.quad	0x75ed8bd82c0ff43b              ; double 1.1357137858232099E+260
	.quad	0x7632bfbd1bdf17df              ; double 2.3061836232431714E+261
	.quad	0x766e5aab154463e9              ; double 2.9869272567150421E+262
	.quad	0x76b355bb04be109e              ; double 6.0883247653619724E+263
	.quad	0x76ef6bdb1903cb6c              ; double 7.9153572302948615E+264
	.quad	0x7734171452ed7d44              ; double 1.6194943875862846E+266
	.quad	0x777062bec18b7a95              ; double 2.1134003804887281E+267
	.quad	0x77b5082946d09f23              ; double 4.3402449587312426E+268
	.quad	0x77f137c2715f8fce              ; double 5.6850470235146779E+269
	.quad	0x78362e9b88b007d7              ; double 1.1718661388574355E+271
	.quad	0x78723a06d604293b              ; double 1.5406477433724777E+272
	.quad	0x78b79185413b0855              ; double 3.1874758976922249E+273
	.quad	0x78f36fe14a3a6ff8              ; double 4.2059683394068642E+274
	.quad	0x793939c09fd12eeb              ; double 8.7336839596766963E+275
	.quad	0x7974e12f02bcc648              ; double 1.1566412933368878E+277
	.quad	0x79bb3243ac4d8695              ; double 2.4104967728707681E+278
	.quad	0x79f697a7ddf6428c              ; double 3.2038963825431792E+279
	.quad	0x7a3d88957d1c3026              ; double 6.7011810285807354E+280
	.quad	0x7a789f47f2e76286              ; double 8.9388709072954691E+281
	.quad	0x7ac026b1c06b6a55              ; double 1.876330688002606E+283
	.quad	0x7afb06d5f99ffb25              ; double 2.5118227249500268E+284
	.quad	0x7b41ca9fcdf65321              ; double 5.2912525401673482E+285
	.quad	0x7b7de08e8af3daa2              ; double 7.1084583116085759E+286
	.quad	0x7bc3bcc9487d4439              ; double 1.502715721407527E+288
	.quad	0x7c00a17f5858bd33              ; double 2.0259106188084441E+289
	.quad	0x7c460ce8defbf238              ; double 4.2977669632255275E+290
	.quad	0x7c82a50dc40b7c1c              ; double 5.8143634759802343E+291
	.quad	0x7cc8ce85fadb707e              ; double 1.2377568854089517E+293
	.quad	0x7d050c548a50f71c              ; double 1.6803510445582878E+294
	.quad	0x7d4c19f3c62c956f              ; double 3.5894949676859601E+295
	.quad	0x7d87ed04193a08e5              ; double 4.8898215396646177E+296
	.quad	0x7dd006cd07056d39              ; double 1.0481325305643003E+298
	.quad	0x7e0b6245b0df6c2e              ; double 1.432717711121733E+299
	.quad	0x7e5267cf76103b70              ; double 3.0815096398590432E+300
	.quad	0x7e8f8e3e4ed175a9              ; double 4.2265172478091122E+301
	.quad	0x7ed54807e082c4b9              ; double 9.121268533982767E+302
	.quad	0x7f124e0324b880c1              ; double 1.2552756225993064E+304
	.size	_ZL17double_fact_table, 2384

	.type	_ZL10fact_table,@object         ; @_ZL10fact_table
	.p2align	4, 0x0
_ZL10fact_table:
	.quad	0x3ff0000000000000              ; double 1
	.quad	0x3ff0000000000000              ; double 1
	;; [unrolled: 1-line block ×19, first 2 shown]
	.quad	0x437b02b930689000              ; double 1.21645100408832E+17
	.quad	0x43c0e1b3be415a00              ; double 2.43290200817664E+18
	.quad	0x4406283be9b5c620              ; double 5.109094217170944E+19
	.quad	0x444e77526159f06c              ; double 1.1240007277776077E+21
	.quad	0x4495e5c335f8a4ce              ; double 2.5852016738884978E+22
	.quad	0x44e06c52687a7b9a              ; double 6.2044840173323941E+23
	.quad	0x4529a940c33f6121              ; double 1.5511210043330986E+25
	.quad	0x4574d9849ea37eeb              ; double 4.0329146112660565E+26
	.quad	0x45c19787e5d9f316              ; double 1.0888869450418352E+28
	.quad	0x460ec92dd23d6967              ; double 3.0488834461171387E+29
	.quad	0x465be6518687a785              ; double 8.8417619937397019E+30
	.quad	0x46aa27ec6e1f2d0d              ; double 2.6525285981219107E+32
	.quad	0x46f956ad0aae33a4              ; double 8.2228386541779224E+33
	.quad	0x474956ad0aae33a4              ; double 2.6313083693369352E+35
	.quad	0x479a21627303a541              ; double 8.6833176188118859E+36
	.quad	0x47ebc3789a33df96              ; double 2.9523279903960416E+38
	.quad	0x483e5dcbe8a8bc8c              ; double 1.0333147966386145E+40
	.quad	0x489114c2b2deea0f              ; double 3.7199332678990125E+41
	.quad	0x48e3c0011ed1bea1              ; double 1.3763753091226346E+43
	.quad	0x493774015499125f              ; double 5.2302261746660112E+44
	.quad	0x498c95619f1a8e64              ; double 2.0397882081197444E+46
	.quad	0x49e1dd5d037098fe              ; double 8.1591528324789768E+47
	.quad	0x4a36e39f2c684406              ; double 3.3452526613163808E+49
	.quad	0x4a8e0ac0ea48d948              ; double 1.40500611775288E+51
	.quad	0x4ae42f399d68f1fc              ; double 6.0415263063373834E+52
	.quad	0x4b3bc0ef38704cbb              ; double 2.6582715747884489E+54
	.quad	0x4b9383a833aef5f3              ; double 1.1962222086548019E+56
	.quad	0x4bec0d41ca4b818e              ; double 5.5026221598120892E+57
	.quad	0x4c4499bc508f7324              ; double 2.5862324151116818E+59
	.quad	0x4c9ee69a78d72cb6              ; double 1.2413915592536073E+61
	.quad	0x4cf7a88e4484be3b              ; double 6.0828186403426752E+62
	.quad	0x4d527baf2587b49e              ; double 3.0414093201713376E+64
	.quad	0x4dad751f23d047dc              ; double 1.5511187532873822E+66
	.quad	0x4e07ef294d193a63              ; double 8.0658175170943877E+67
	.quad	0x4e63d20e33d8e45a              ; double 4.2748832840600255E+69
	.quad	0x4ec0b93bfbbf00ac              ; double 2.3084369733924138E+71
	.quad	0x4f1cbe5f18b04928              ; double 1.2696403353658276E+73
	.quad	0x4f792693359a4003              ; double 7.1099858780486348E+74
	.quad	0x4fd6665b1bbd6102              ; double 4.0526919504877214E+76
	.quad	0x50344cc291239fea              ; double 2.3505613312828785E+78
	.quad	0x5092b6c35dccd76c              ; double 1.3868311854568984E+80
	.quad	0x50f18b5727f009f5              ; double 8.3209871127413898E+81
	.quad	0x5150b8cf1210c97e              ; double 5.0758021387722484E+83
	.quad	0x51b0330899804332              ; double 3.1469973260387939E+85
	.quad	0x520fe478ee34844a              ; double 1.9826083154044401E+87
	.quad	0x526fe478ee34844a              ; double 1.2688693218588417E+89
	.quad	0x52d0320568f6ab2e              ; double 8.2476505920824715E+90
	.quad	0x5330b395943e6087              ; double 5.4434493907744307E+92
	.quad	0x53917c0097314d0d              ; double 3.6471110918188683E+94
	.quad	0x53f293c0a0a461de              ; double 2.4800355424368305E+96
	.quad	0x5454074bad313983              ; double 1.711224524281413E+98
	.quad	0x54b5e7fac56dd6e8              ; double 1.1978571669969892E+100
	.quad	0x55184d5a3305da69              ; double 8.504785885678623E+101
	.quad	0x557b5705796695b6              ; double 6.1234458376886085E+103
	.quad	0x55df2f423e7902c4              ; double 4.4701154615126844E+105
	.quad	0x564207524c1df599              ; double 3.3078854415193862E+107
	.quad	0x56a5209471331bd0              ; double 2.48091408113954E+109
	.quad	0x570916b0466cb107              ; double 1.8854947016660504E+111
	.quad	0x576e2f4c14bac4fc              ; double 1.4518309202828587E+113
	.quad	0x57d264d25ca1d009              ; double 1.1324281178206297E+115
	.quad	0x5836b473aa57bccc              ; double 8.9461821307829757E+116
	.quad	0x589c619094edabff              ; double 7.1569457046263806E+118
	.quad	0x5901f5bd7e3e66d7              ; double 5.7971260207473678E+120
	.quad	0x596702dac9bff3c4              ; double 4.753643337012842E+122
	.quad	0x59cdd7b3bda4f022              ; double 3.9455239697206588E+124
	.quad	0x5a33958df4743d96              ; double 3.3142401345653532E+126
	.quad	0x5a9a02a088aa61cb              ; double 2.8171041143805501E+128
	.quad	0x5b0179c3dbd279b5              ; double 2.4227095383672734E+130
	.quad	0x5b67c1863ed21d72              ; double 2.1077572983795279E+132
	.quad	0x5bd0550c4b30743e              ; double 1.8548264225739844E+134
	.quad	0x5c36b645188f61a6              ; double 1.650795516090846E+136
	.quad	0x5c9ff0512a89a152              ; double 1.4857159644817615E+138
	.quad	0x5d06b4d9b43dd8b0              ; double 1.3520015276784029E+140
	.quad	0x5d7051fc798c73bf              ; double 1.2438414054641308E+142
	.quad	0x5dd7b722e0a01831              ; double 1.1567725070816416E+144
	.quad	0x5e416a7d9cf591c4              ; double 1.0873661566567431E+146
	.quad	0x5ea9da1274fc845f              ; double 1.0329978488239059E+148
	.quad	0x5f13638dd7bd6347              ; double 9.9167793487094964E+149
	.quad	0x5f7d62e2fafb0a78              ; double 9.619275968248212E+151
	.quad	0x5fe67fb5c8283404              ; double 9.426890448883248E+153
	.quad	0x605166c698cf183b              ; double 9.3326215443944153E+155
	.quad	0x60bb30964ec395dc              ; double 9.3326215443944151E+157
	.quad	0x612574569a265440              ; double 9.4259477598383599E+159
	.quad	0x619118b502d68b23              ; double 9.614466715035127E+161
	.quad	0x61fb83c3509147ec              ; double 9.9029007164861805E+163
	.quad	0x62665b0eb1760a70              ; double 1.0299016745145628E+166
	.quad	0x62d256b20d92d490              ; double 1.081396758240291E+168
	.quad	0x633e5f96e67b300e              ; double 1.1462805637347084E+170
	.quad	0x63a963e824aafa2c              ; double 1.226520203196138E+172
	.quad	0x64156c4bdef04315              ; double 1.324641819451829E+174
	.quad	0x64823e389bd89920              ; double 1.4438595832024937E+176
	.quad	0x64ef5af14bdc472f              ; double 1.588245541522743E+178
	.quad	0x655b30dd3fc905ba              ; double 1.7629525510902446E+180
	.quad	0x65c7cac197cfe503              ; double 1.974506857221074E+182
	.quad	0x663500fee805882d              ; double 2.2311927486598138E+184
	.quad	0x66a2b4e306a4ed48              ; double 2.5435597334721877E+186
	.quad	0x6710ce83f7f82d2f              ; double 2.925093693493016E+188
	.quad	0x677e764f3171d1e4              ; double 3.3931086844518981E+190
	.quad	0x67ebd824633209db              ; double 3.9699371608087211E+192
	.quad	0x6859ab418b722116              ; double 4.6845258497542909E+194
	.quad	0x68c7dd36efa41ac2              ; double 5.5745857612076058E+196
	.quad	0x69365f6380a9d916              ; double 6.6895029134491271E+198
	.quad	0x69a5262c0fa08f37              ; double 8.0942985252734441E+200
	.quad	0x6a142861fee50880              ; double 9.875044200833601E+202
	.quad	0x6a835ece2af0162b              ; double 1.2146304367025329E+205
	.quad	0x6af2c3d7b998957a              ; double 1.5061417415111409E+207
	.quad	0x6b625340ab3f01f9              ; double 1.8826771768889261E+209
	.quad	0x6bd209f3a89205f1              ; double 2.3721732428800469E+211
	.quad	0x6c41e5dfc140e1e5              ; double 3.0126600184576594E+213
	.quad	0x6cb1e5dfc140e1e5              ; double 3.8562048236258041E+215
	.quad	0x6d2209ab80c363a9              ; double 4.9745042224772875E+217
	.quad	0x6d9251d22ec67138              ; double 6.4668554892204741E+219
	.quad	0x6e02bfbd1bdf17df              ; double 8.4715806908788206E+221
	.quad	0x6e7355bb04be109e              ; double 1.1182486511960043E+224
	.quad	0x6ee4171452ed7d44              ; double 1.4872707060906857E+226
	.quad	0x6f55082946d09f23              ; double 1.9929427461615188E+228
	.quad	0x6fc62e9b88b007d7              ; double 2.6904727073180504E+230
	.quad	0x70379185413b0855              ; double 3.6590428819525489E+232
	.quad	0x70a939c09fd12eeb              ; double 5.012888748274992E+234
	.quad	0x711b3243ac4d8695              ; double 6.9177864726194886E+236
	.quad	0x718d88957d1c3026              ; double 9.6157231969410894E+238
	.quad	0x720026b1c06b6a55              ; double 1.3462012475717526E+241
	.quad	0x7271ca9fcdf65321              ; double 1.8981437590761709E+243
	.quad	0x72e3bcc9487d4439              ; double 2.6953641378881629E+245
	.quad	0x73560ce8defbf238              ; double 3.8543707171800731E+247
	.quad	0x73c8ce85fadb707e              ; double 5.5502938327393044E+249
	.quad	0x743c19f3c62c956f              ; double 8.0479260574719917E+251
	.quad	0x74b006cd07056d39              ; double 1.1749972043909107E+254
	.quad	0x752267cf76103b70              ; double 1.7272458904546389E+256
	.quad	0x75954807e082c4b9              ; double 2.5563239178728654E+258
	.quad	0x7608c5d92b583900              ; double 3.8089226376305698E+260
	.quad	0x767d07da7ecb62cc              ; double 5.7133839564458547E+262
	.quad	0x76f11fa1e0c9f746              ; double 8.6272097742332399E+264
	.quad	0x776455903aefd5a3              ; double 1.3113358856834524E+267
	.quad	0x77d84e466672ad5d              ; double 2.0063439050956823E+269
	.quad	0x784d3e2cb341f894              ; double 3.0897696138473508E+271
	.quad	0x78c1b4a51088f182              ; double 4.7891429014633941E+273
	.quad	0x793594292c26e656              ; double 7.4710629262828942E+275
	.quad	0x79aa77ba8027b686              ; double 1.1729568794264145E+278
	.quad	0x7a2055e51b1882a7              ; double 1.853271869493735E+280
	.quad	0x7a944ab297a8724b              ; double 2.9467022724950384E+282
	.quad	0x7b095d5f3d928ede              ; double 4.7147236359920616E+284
	.quad	0x7b7fe771cb7257b3              ; double 7.590705053947219E+286
	.quad	0x7bf4307602be5b7f              ; double 1.2296942187394494E+289
	.quad	0x7c69b5b6477e6884              ; double 2.0044015765453026E+291
	.quad	0x7ce07868c5ccfaf4              ; double 3.2872185855342959E+293
	.quad	0x7d553b370efa3b7f              ; double 5.4239106661315887E+295
	.quad	0x7dcb88cb676c8529              ; double 9.0036917057784375E+297
	.quad	0x7e41f63cb077cade              ; double 1.5036165148649991E+300
	.quad	0x7eb7932fa79d3a43              ; double 2.5260757449731984E+302
	.quad	0x7f2f2054eb4d96ec              ; double 4.2690680090047051E+304
	.quad	0x7fa4ab7864418639              ; double 7.257415615307999E+306
	.size	_ZL10fact_table, 1368

	.type	__hip_cuid_9a2a92cf4aa4548,@object ; @__hip_cuid_9a2a92cf4aa4548
	.section	.bss,"aw",@nobits
	.globl	__hip_cuid_9a2a92cf4aa4548
__hip_cuid_9a2a92cf4aa4548:
	.byte	0                               ; 0x0
	.size	__hip_cuid_9a2a92cf4aa4548, 1

	.ident	"AMD clang version 22.0.0git (https://github.com/RadeonOpenCompute/llvm-project roc-7.2.4 26084 f58b06dce1f9c15707c5f808fd002e18c2accf7e)"
	.section	".note.GNU-stack","",@progbits
	.addrsig
	.addrsig_sym __hip_cuid_9a2a92cf4aa4548
	.amdgpu_metadata
---
amdhsa.kernels:
  - .args:
      - .offset:         0
        .size:           8
        .value_kind:     by_value
      - .address_space:  global
        .offset:         8
        .size:           8
        .value_kind:     global_buffer
      - .address_space:  global
        .offset:         16
        .size:           8
        .value_kind:     global_buffer
    .group_segment_fixed_size: 0
    .kernarg_segment_align: 8
    .kernarg_segment_size: 24
    .language:       OpenCL C
    .language_version:
      - 2
      - 0
    .max_flat_workgroup_size: 1024
    .name:           _Z5RHS_fdPKdPd
    .private_segment_fixed_size: 0
    .sgpr_count:     34
    .sgpr_spill_count: 0
    .symbol:         _Z5RHS_fdPKdPd.kd
    .uniform_work_group_size: 1
    .uses_dynamic_stack: false
    .vgpr_count:     44
    .vgpr_spill_count: 0
    .wavefront_size: 32
amdhsa.target:   amdgcn-amd-amdhsa--gfx1250
amdhsa.version:
  - 1
  - 2
...

	.end_amdgpu_metadata
